;; amdgpu-corpus repo=ROCm/rocFFT kind=compiled arch=gfx1100 opt=O3
	.text
	.amdgcn_target "amdgcn-amd-amdhsa--gfx1100"
	.amdhsa_code_object_version 6
	.protected	fft_rtc_back_len2560_factors_4_4_4_10_4_wgs_128_tpt_128_halfLds_dp_op_CI_CI_unitstride_sbrr_C2R_dirReg ; -- Begin function fft_rtc_back_len2560_factors_4_4_4_10_4_wgs_128_tpt_128_halfLds_dp_op_CI_CI_unitstride_sbrr_C2R_dirReg
	.globl	fft_rtc_back_len2560_factors_4_4_4_10_4_wgs_128_tpt_128_halfLds_dp_op_CI_CI_unitstride_sbrr_C2R_dirReg
	.p2align	8
	.type	fft_rtc_back_len2560_factors_4_4_4_10_4_wgs_128_tpt_128_halfLds_dp_op_CI_CI_unitstride_sbrr_C2R_dirReg,@function
fft_rtc_back_len2560_factors_4_4_4_10_4_wgs_128_tpt_128_halfLds_dp_op_CI_CI_unitstride_sbrr_C2R_dirReg: ; @fft_rtc_back_len2560_factors_4_4_4_10_4_wgs_128_tpt_128_halfLds_dp_op_CI_CI_unitstride_sbrr_C2R_dirReg
; %bb.0:
	s_clause 0x2
	s_load_b128 s[8:11], s[0:1], 0x0
	s_load_b128 s[4:7], s[0:1], 0x58
	;; [unrolled: 1-line block ×3, first 2 shown]
	v_mov_b32_e32 v3, 0
	v_mov_b32_e32 v1, 0
	v_dual_mov_b32 v2, 0 :: v_dual_mov_b32 v5, s15
	s_delay_alu instid0(VALU_DEP_3) | instskip(SKIP_2) | instid1(VALU_DEP_1)
	v_mov_b32_e32 v6, v3
	s_waitcnt lgkmcnt(0)
	v_cmp_lt_u64_e64 s2, s[10:11], 2
	s_and_b32 vcc_lo, exec_lo, s2
	s_cbranch_vccnz .LBB0_8
; %bb.1:
	s_load_b64 s[2:3], s[0:1], 0x10
	v_mov_b32_e32 v1, 0
	v_mov_b32_e32 v2, 0
	s_add_u32 s12, s18, 8
	s_addc_u32 s13, s19, 0
	s_add_u32 s14, s16, 8
	s_addc_u32 s15, s17, 0
	v_dual_mov_b32 v21, v2 :: v_dual_mov_b32 v20, v1
	s_mov_b64 s[22:23], 1
	s_waitcnt lgkmcnt(0)
	s_add_u32 s20, s2, 8
	s_addc_u32 s21, s3, 0
.LBB0_2:                                ; =>This Inner Loop Header: Depth=1
	s_load_b64 s[24:25], s[20:21], 0x0
                                        ; implicit-def: $vgpr22_vgpr23
	s_mov_b32 s2, exec_lo
	s_waitcnt lgkmcnt(0)
	v_or_b32_e32 v4, s25, v6
	s_delay_alu instid0(VALU_DEP_1)
	v_cmpx_ne_u64_e32 0, v[3:4]
	s_xor_b32 s3, exec_lo, s2
	s_cbranch_execz .LBB0_4
; %bb.3:                                ;   in Loop: Header=BB0_2 Depth=1
	v_cvt_f32_u32_e32 v4, s24
	v_cvt_f32_u32_e32 v7, s25
	s_sub_u32 s2, 0, s24
	s_subb_u32 s26, 0, s25
	s_delay_alu instid0(VALU_DEP_1) | instskip(NEXT) | instid1(VALU_DEP_1)
	v_fmac_f32_e32 v4, 0x4f800000, v7
	v_rcp_f32_e32 v4, v4
	s_waitcnt_depctr 0xfff
	v_mul_f32_e32 v4, 0x5f7ffffc, v4
	s_delay_alu instid0(VALU_DEP_1) | instskip(NEXT) | instid1(VALU_DEP_1)
	v_mul_f32_e32 v7, 0x2f800000, v4
	v_trunc_f32_e32 v7, v7
	s_delay_alu instid0(VALU_DEP_1) | instskip(SKIP_1) | instid1(VALU_DEP_2)
	v_fmac_f32_e32 v4, 0xcf800000, v7
	v_cvt_u32_f32_e32 v7, v7
	v_cvt_u32_f32_e32 v4, v4
	s_delay_alu instid0(VALU_DEP_2) | instskip(NEXT) | instid1(VALU_DEP_2)
	v_mul_lo_u32 v8, s2, v7
	v_mul_hi_u32 v9, s2, v4
	v_mul_lo_u32 v10, s26, v4
	s_delay_alu instid0(VALU_DEP_2) | instskip(SKIP_1) | instid1(VALU_DEP_2)
	v_add_nc_u32_e32 v8, v9, v8
	v_mul_lo_u32 v9, s2, v4
	v_add_nc_u32_e32 v8, v8, v10
	s_delay_alu instid0(VALU_DEP_2) | instskip(NEXT) | instid1(VALU_DEP_2)
	v_mul_hi_u32 v10, v4, v9
	v_mul_lo_u32 v11, v4, v8
	v_mul_hi_u32 v12, v4, v8
	v_mul_hi_u32 v13, v7, v9
	v_mul_lo_u32 v9, v7, v9
	v_mul_hi_u32 v14, v7, v8
	v_mul_lo_u32 v8, v7, v8
	v_add_co_u32 v10, vcc_lo, v10, v11
	v_add_co_ci_u32_e32 v11, vcc_lo, 0, v12, vcc_lo
	s_delay_alu instid0(VALU_DEP_2) | instskip(NEXT) | instid1(VALU_DEP_2)
	v_add_co_u32 v9, vcc_lo, v10, v9
	v_add_co_ci_u32_e32 v9, vcc_lo, v11, v13, vcc_lo
	v_add_co_ci_u32_e32 v10, vcc_lo, 0, v14, vcc_lo
	s_delay_alu instid0(VALU_DEP_2) | instskip(NEXT) | instid1(VALU_DEP_2)
	v_add_co_u32 v8, vcc_lo, v9, v8
	v_add_co_ci_u32_e32 v9, vcc_lo, 0, v10, vcc_lo
	s_delay_alu instid0(VALU_DEP_2) | instskip(NEXT) | instid1(VALU_DEP_2)
	v_add_co_u32 v4, vcc_lo, v4, v8
	v_add_co_ci_u32_e32 v7, vcc_lo, v7, v9, vcc_lo
	s_delay_alu instid0(VALU_DEP_2) | instskip(SKIP_1) | instid1(VALU_DEP_3)
	v_mul_hi_u32 v8, s2, v4
	v_mul_lo_u32 v10, s26, v4
	v_mul_lo_u32 v9, s2, v7
	s_delay_alu instid0(VALU_DEP_1) | instskip(SKIP_1) | instid1(VALU_DEP_2)
	v_add_nc_u32_e32 v8, v8, v9
	v_mul_lo_u32 v9, s2, v4
	v_add_nc_u32_e32 v8, v8, v10
	s_delay_alu instid0(VALU_DEP_2) | instskip(NEXT) | instid1(VALU_DEP_2)
	v_mul_hi_u32 v10, v4, v9
	v_mul_lo_u32 v11, v4, v8
	v_mul_hi_u32 v12, v4, v8
	v_mul_hi_u32 v13, v7, v9
	v_mul_lo_u32 v9, v7, v9
	v_mul_hi_u32 v14, v7, v8
	v_mul_lo_u32 v8, v7, v8
	v_add_co_u32 v10, vcc_lo, v10, v11
	v_add_co_ci_u32_e32 v11, vcc_lo, 0, v12, vcc_lo
	s_delay_alu instid0(VALU_DEP_2) | instskip(NEXT) | instid1(VALU_DEP_2)
	v_add_co_u32 v9, vcc_lo, v10, v9
	v_add_co_ci_u32_e32 v9, vcc_lo, v11, v13, vcc_lo
	v_add_co_ci_u32_e32 v10, vcc_lo, 0, v14, vcc_lo
	s_delay_alu instid0(VALU_DEP_2) | instskip(NEXT) | instid1(VALU_DEP_2)
	v_add_co_u32 v8, vcc_lo, v9, v8
	v_add_co_ci_u32_e32 v9, vcc_lo, 0, v10, vcc_lo
	s_delay_alu instid0(VALU_DEP_2) | instskip(NEXT) | instid1(VALU_DEP_2)
	v_add_co_u32 v4, vcc_lo, v4, v8
	v_add_co_ci_u32_e32 v13, vcc_lo, v7, v9, vcc_lo
	s_delay_alu instid0(VALU_DEP_2) | instskip(SKIP_1) | instid1(VALU_DEP_3)
	v_mul_hi_u32 v14, v5, v4
	v_mad_u64_u32 v[9:10], null, v6, v4, 0
	v_mad_u64_u32 v[7:8], null, v5, v13, 0
	;; [unrolled: 1-line block ×3, first 2 shown]
	s_delay_alu instid0(VALU_DEP_2) | instskip(NEXT) | instid1(VALU_DEP_3)
	v_add_co_u32 v4, vcc_lo, v14, v7
	v_add_co_ci_u32_e32 v7, vcc_lo, 0, v8, vcc_lo
	s_delay_alu instid0(VALU_DEP_2) | instskip(NEXT) | instid1(VALU_DEP_2)
	v_add_co_u32 v4, vcc_lo, v4, v9
	v_add_co_ci_u32_e32 v4, vcc_lo, v7, v10, vcc_lo
	v_add_co_ci_u32_e32 v7, vcc_lo, 0, v12, vcc_lo
	s_delay_alu instid0(VALU_DEP_2) | instskip(NEXT) | instid1(VALU_DEP_2)
	v_add_co_u32 v4, vcc_lo, v4, v11
	v_add_co_ci_u32_e32 v9, vcc_lo, 0, v7, vcc_lo
	s_delay_alu instid0(VALU_DEP_2) | instskip(SKIP_1) | instid1(VALU_DEP_3)
	v_mul_lo_u32 v10, s25, v4
	v_mad_u64_u32 v[7:8], null, s24, v4, 0
	v_mul_lo_u32 v11, s24, v9
	s_delay_alu instid0(VALU_DEP_2) | instskip(NEXT) | instid1(VALU_DEP_2)
	v_sub_co_u32 v7, vcc_lo, v5, v7
	v_add3_u32 v8, v8, v11, v10
	s_delay_alu instid0(VALU_DEP_1) | instskip(NEXT) | instid1(VALU_DEP_1)
	v_sub_nc_u32_e32 v10, v6, v8
	v_subrev_co_ci_u32_e64 v10, s2, s25, v10, vcc_lo
	v_add_co_u32 v11, s2, v4, 2
	s_delay_alu instid0(VALU_DEP_1) | instskip(SKIP_3) | instid1(VALU_DEP_3)
	v_add_co_ci_u32_e64 v12, s2, 0, v9, s2
	v_sub_co_u32 v13, s2, v7, s24
	v_sub_co_ci_u32_e32 v8, vcc_lo, v6, v8, vcc_lo
	v_subrev_co_ci_u32_e64 v10, s2, 0, v10, s2
	v_cmp_le_u32_e32 vcc_lo, s24, v13
	s_delay_alu instid0(VALU_DEP_3) | instskip(SKIP_1) | instid1(VALU_DEP_4)
	v_cmp_eq_u32_e64 s2, s25, v8
	v_cndmask_b32_e64 v13, 0, -1, vcc_lo
	v_cmp_le_u32_e32 vcc_lo, s25, v10
	v_cndmask_b32_e64 v14, 0, -1, vcc_lo
	v_cmp_le_u32_e32 vcc_lo, s24, v7
	;; [unrolled: 2-line block ×3, first 2 shown]
	v_cndmask_b32_e64 v15, 0, -1, vcc_lo
	v_cmp_eq_u32_e32 vcc_lo, s25, v10
	s_delay_alu instid0(VALU_DEP_2) | instskip(SKIP_3) | instid1(VALU_DEP_3)
	v_cndmask_b32_e64 v7, v15, v7, s2
	v_cndmask_b32_e32 v10, v14, v13, vcc_lo
	v_add_co_u32 v13, vcc_lo, v4, 1
	v_add_co_ci_u32_e32 v14, vcc_lo, 0, v9, vcc_lo
	v_cmp_ne_u32_e32 vcc_lo, 0, v10
	s_delay_alu instid0(VALU_DEP_2) | instskip(NEXT) | instid1(VALU_DEP_4)
	v_cndmask_b32_e32 v8, v14, v12, vcc_lo
	v_cndmask_b32_e32 v10, v13, v11, vcc_lo
	v_cmp_ne_u32_e32 vcc_lo, 0, v7
	s_delay_alu instid0(VALU_DEP_2)
	v_dual_cndmask_b32 v23, v9, v8 :: v_dual_cndmask_b32 v22, v4, v10
.LBB0_4:                                ;   in Loop: Header=BB0_2 Depth=1
	s_and_not1_saveexec_b32 s2, s3
	s_cbranch_execz .LBB0_6
; %bb.5:                                ;   in Loop: Header=BB0_2 Depth=1
	v_cvt_f32_u32_e32 v4, s24
	s_sub_i32 s3, 0, s24
	v_mov_b32_e32 v23, v3
	s_delay_alu instid0(VALU_DEP_2) | instskip(SKIP_2) | instid1(VALU_DEP_1)
	v_rcp_iflag_f32_e32 v4, v4
	s_waitcnt_depctr 0xfff
	v_mul_f32_e32 v4, 0x4f7ffffe, v4
	v_cvt_u32_f32_e32 v4, v4
	s_delay_alu instid0(VALU_DEP_1) | instskip(NEXT) | instid1(VALU_DEP_1)
	v_mul_lo_u32 v7, s3, v4
	v_mul_hi_u32 v7, v4, v7
	s_delay_alu instid0(VALU_DEP_1) | instskip(NEXT) | instid1(VALU_DEP_1)
	v_add_nc_u32_e32 v4, v4, v7
	v_mul_hi_u32 v4, v5, v4
	s_delay_alu instid0(VALU_DEP_1) | instskip(SKIP_1) | instid1(VALU_DEP_2)
	v_mul_lo_u32 v7, v4, s24
	v_add_nc_u32_e32 v8, 1, v4
	v_sub_nc_u32_e32 v7, v5, v7
	s_delay_alu instid0(VALU_DEP_1) | instskip(SKIP_1) | instid1(VALU_DEP_2)
	v_subrev_nc_u32_e32 v9, s24, v7
	v_cmp_le_u32_e32 vcc_lo, s24, v7
	v_dual_cndmask_b32 v7, v7, v9 :: v_dual_cndmask_b32 v4, v4, v8
	s_delay_alu instid0(VALU_DEP_1) | instskip(NEXT) | instid1(VALU_DEP_2)
	v_cmp_le_u32_e32 vcc_lo, s24, v7
	v_add_nc_u32_e32 v8, 1, v4
	s_delay_alu instid0(VALU_DEP_1)
	v_cndmask_b32_e32 v22, v4, v8, vcc_lo
.LBB0_6:                                ;   in Loop: Header=BB0_2 Depth=1
	s_or_b32 exec_lo, exec_lo, s2
	s_delay_alu instid0(VALU_DEP_1) | instskip(NEXT) | instid1(VALU_DEP_2)
	v_mul_lo_u32 v4, v23, s24
	v_mul_lo_u32 v9, v22, s25
	s_load_b64 s[2:3], s[14:15], 0x0
	v_mad_u64_u32 v[7:8], null, v22, s24, 0
	s_load_b64 s[24:25], s[12:13], 0x0
	s_add_u32 s22, s22, 1
	s_addc_u32 s23, s23, 0
	s_add_u32 s12, s12, 8
	s_addc_u32 s13, s13, 0
	s_add_u32 s14, s14, 8
	s_delay_alu instid0(VALU_DEP_1) | instskip(SKIP_3) | instid1(VALU_DEP_2)
	v_add3_u32 v4, v8, v9, v4
	v_sub_co_u32 v8, vcc_lo, v5, v7
	s_addc_u32 s15, s15, 0
	s_add_u32 s20, s20, 8
	v_sub_co_ci_u32_e32 v6, vcc_lo, v6, v4, vcc_lo
	s_addc_u32 s21, s21, 0
	s_waitcnt lgkmcnt(0)
	s_delay_alu instid0(VALU_DEP_1)
	v_mul_lo_u32 v9, s2, v6
	v_mul_lo_u32 v10, s3, v8
	v_mad_u64_u32 v[4:5], null, s2, v8, v[1:2]
	v_mul_lo_u32 v11, s24, v6
	v_mul_lo_u32 v12, s25, v8
	v_mad_u64_u32 v[6:7], null, s24, v8, v[20:21]
	v_cmp_ge_u64_e64 s2, s[22:23], s[10:11]
	v_add3_u32 v2, v10, v5, v9
	s_delay_alu instid0(VALU_DEP_3) | instskip(NEXT) | instid1(VALU_DEP_4)
	v_dual_mov_b32 v1, v4 :: v_dual_mov_b32 v20, v6
	v_add3_u32 v21, v12, v7, v11
	s_delay_alu instid0(VALU_DEP_4)
	s_and_b32 vcc_lo, exec_lo, s2
	s_cbranch_vccnz .LBB0_9
; %bb.7:                                ;   in Loop: Header=BB0_2 Depth=1
	v_dual_mov_b32 v5, v22 :: v_dual_mov_b32 v6, v23
	s_branch .LBB0_2
.LBB0_8:
	v_dual_mov_b32 v21, v2 :: v_dual_mov_b32 v20, v1
	v_dual_mov_b32 v23, v6 :: v_dual_mov_b32 v22, v5
.LBB0_9:
	s_load_b64 s[0:1], s[0:1], 0x28
	s_lshl_b64 s[10:11], s[10:11], 3
                                        ; implicit-def: $vgpr24
	s_delay_alu instid0(SALU_CYCLE_1) | instskip(SKIP_4) | instid1(VALU_DEP_1)
	s_add_u32 s2, s18, s10
	s_addc_u32 s3, s19, s11
	s_waitcnt lgkmcnt(0)
	v_cmp_gt_u64_e32 vcc_lo, s[0:1], v[22:23]
	v_cmp_le_u64_e64 s0, s[0:1], v[22:23]
	s_and_saveexec_b32 s1, s0
	s_delay_alu instid0(SALU_CYCLE_1)
	s_xor_b32 s0, exec_lo, s1
; %bb.10:
	v_mov_b32_e32 v24, v0
                                        ; implicit-def: $vgpr1_vgpr2
; %bb.11:
	s_or_saveexec_b32 s1, s0
	s_load_b64 s[2:3], s[2:3], 0x0
	s_xor_b32 exec_lo, exec_lo, s1
	s_cbranch_execz .LBB0_15
; %bb.12:
	s_add_u32 s10, s16, s10
	s_addc_u32 s11, s17, s11
	v_lshlrev_b64 v[1:2], 4, v[1:2]
	s_load_b64 s[10:11], s[10:11], 0x0
	v_lshlrev_b32_e32 v19, 4, v0
	s_delay_alu instid0(VALU_DEP_1)
	v_or_b32_e32 v9, 0x2000, v19
	v_or_b32_e32 v10, 0x2800, v19
	;; [unrolled: 1-line block ×8, first 2 shown]
	s_waitcnt lgkmcnt(0)
	v_mul_lo_u32 v5, s11, v22
	v_mul_lo_u32 v6, s10, v23
	v_mad_u64_u32 v[3:4], null, s10, v22, 0
	s_delay_alu instid0(VALU_DEP_1) | instskip(SKIP_2) | instid1(VALU_DEP_3)
	v_add3_u32 v4, v4, v6, v5
	v_or_b32_e32 v5, 0x1000, v19
	v_or_b32_e32 v6, 0x1800, v19
	v_lshlrev_b64 v[3:4], 4, v[3:4]
	s_delay_alu instid0(VALU_DEP_1) | instskip(NEXT) | instid1(VALU_DEP_1)
	v_add_co_u32 v3, s0, s4, v3
	v_add_co_ci_u32_e64 v4, s0, s5, v4, s0
	s_delay_alu instid0(VALU_DEP_2) | instskip(NEXT) | instid1(VALU_DEP_1)
	v_add_co_u32 v1, s0, v3, v1
	v_add_co_ci_u32_e64 v2, s0, v4, v2, s0
	s_delay_alu instid0(VALU_DEP_2) | instskip(NEXT) | instid1(VALU_DEP_1)
	v_add_co_u32 v7, s0, v1, v19
	v_add_co_ci_u32_e64 v8, s0, 0, v2, s0
	v_add_co_u32 v11, s0, v1, v5
	s_delay_alu instid0(VALU_DEP_1) | instskip(SKIP_1) | instid1(VALU_DEP_1)
	v_add_co_ci_u32_e64 v12, s0, 0, v2, s0
	v_add_co_u32 v15, s0, v1, v6
	v_add_co_ci_u32_e64 v16, s0, 0, v2, s0
	v_add_co_u32 v24, s0, v1, v9
	s_delay_alu instid0(VALU_DEP_1) | instskip(SKIP_1) | instid1(VALU_DEP_1)
	v_add_co_ci_u32_e64 v25, s0, 0, v2, s0
	v_add_co_u32 v29, s0, v1, v10
	v_add_co_ci_u32_e64 v30, s0, 0, v2, s0
	v_add_co_u32 v33, s0, v1, v13
	s_delay_alu instid0(VALU_DEP_1)
	v_add_co_ci_u32_e64 v34, s0, 0, v2, s0
	v_add_co_u32 v37, s0, v1, v89
	s_clause 0x5
	global_load_b128 v[3:6], v[7:8], off
	global_load_b128 v[7:10], v[7:8], off offset:2048
	global_load_b128 v[11:14], v[11:12], off
	global_load_b128 v[15:18], v[15:16], off
	;; [unrolled: 1-line block ×4, first 2 shown]
	v_or_b32_e32 v24, 0x4800, v19
	v_add_co_ci_u32_e64 v38, s0, 0, v2, s0
	v_add_co_u32 v41, s0, v1, v35
	s_delay_alu instid0(VALU_DEP_1) | instskip(NEXT) | instid1(VALU_DEP_4)
	v_add_co_ci_u32_e64 v42, s0, 0, v2, s0
	v_add_co_u32 v45, s0, v1, v24
	v_or_b32_e32 v24, 0x5000, v19
	v_add_co_ci_u32_e64 v46, s0, 0, v2, s0
	s_clause 0x3
	global_load_b128 v[33:36], v[33:34], off
	global_load_b128 v[37:40], v[37:38], off
	;; [unrolled: 1-line block ×4, first 2 shown]
	v_add_co_u32 v49, s0, v1, v24
	v_or_b32_e32 v24, 0x6000, v19
	v_add_co_ci_u32_e64 v50, s0, 0, v2, s0
	v_add_co_u32 v53, s0, v1, v51
	v_or_b32_e32 v51, 0x6800, v19
	v_add_co_ci_u32_e64 v54, s0, 0, v2, s0
	;; [unrolled: 3-line block ×3, first 2 shown]
	v_add_co_u32 v61, s0, v1, v51
	s_delay_alu instid0(VALU_DEP_1) | instskip(NEXT) | instid1(VALU_DEP_4)
	v_add_co_ci_u32_e64 v62, s0, 0, v2, s0
	v_add_co_u32 v65, s0, v1, v24
	v_or_b32_e32 v24, 0x8000, v19
	v_add_co_ci_u32_e64 v66, s0, 0, v2, s0
	v_add_co_u32 v69, s0, v1, v90
	s_delay_alu instid0(VALU_DEP_1) | instskip(NEXT) | instid1(VALU_DEP_4)
	v_add_co_ci_u32_e64 v70, s0, 0, v2, s0
	v_add_co_u32 v73, s0, v1, v24
	v_or_b32_e32 v24, 0x9000, v19
	v_add_co_ci_u32_e64 v74, s0, 0, v2, s0
	v_add_co_u32 v77, s0, v1, v71
	s_delay_alu instid0(VALU_DEP_1) | instskip(NEXT) | instid1(VALU_DEP_4)
	v_add_co_ci_u32_e64 v78, s0, 0, v2, s0
	v_add_co_u32 v81, s0, v1, v24
	v_mov_b32_e32 v24, v0
	v_or_b32_e32 v71, 0x9800, v19
	v_add_co_ci_u32_e64 v82, s0, 0, v2, s0
	s_clause 0x4
	global_load_b128 v[49:52], v[49:50], off
	global_load_b128 v[53:56], v[53:54], off
	;; [unrolled: 1-line block ×5, first 2 shown]
	v_add_co_u32 v85, s0, v1, v71
	s_delay_alu instid0(VALU_DEP_1)
	v_add_co_ci_u32_e64 v86, s0, 0, v2, s0
	s_clause 0x4
	global_load_b128 v[69:72], v[69:70], off
	global_load_b128 v[73:76], v[73:74], off
	;; [unrolled: 1-line block ×5, first 2 shown]
	v_add_nc_u32_e32 v19, 0, v19
	v_cmp_eq_u32_e64 s0, 0x7f, v0
	v_add_nc_u32_e32 v89, 0, v89
	v_add_nc_u32_e32 v90, 0, v90
	s_waitcnt vmcnt(19)
	ds_store_b128 v19, v[3:6]
	s_waitcnt vmcnt(18)
	ds_store_b128 v19, v[7:10] offset:2048
	s_waitcnt vmcnt(17)
	ds_store_b128 v19, v[11:14] offset:4096
	s_waitcnt vmcnt(16)
	ds_store_b128 v19, v[15:18] offset:6144
	s_waitcnt vmcnt(15)
	ds_store_b128 v19, v[25:28] offset:8192
	s_waitcnt vmcnt(14)
	ds_store_b128 v19, v[29:32] offset:10240
	s_waitcnt vmcnt(13)
	ds_store_b128 v19, v[33:36] offset:12288
	s_waitcnt vmcnt(11)
	ds_store_b128 v19, v[41:44] offset:16384
	s_waitcnt vmcnt(10)
	ds_store_b128 v19, v[45:48] offset:18432
	s_waitcnt vmcnt(9)
	ds_store_b128 v19, v[49:52] offset:20480
	s_waitcnt vmcnt(8)
	ds_store_b128 v19, v[53:56] offset:22528
	s_waitcnt vmcnt(7)
	ds_store_b128 v19, v[57:60] offset:24576
	s_waitcnt vmcnt(6)
	ds_store_b128 v19, v[61:64] offset:26624
	s_waitcnt vmcnt(5)
	ds_store_b128 v19, v[65:68] offset:28672
	ds_store_b128 v89, v[37:40]
	s_waitcnt vmcnt(4)
	ds_store_b128 v90, v[69:72]
	s_waitcnt vmcnt(3)
	ds_store_b128 v19, v[73:76] offset:32768
	s_waitcnt vmcnt(2)
	ds_store_b128 v19, v[77:80] offset:34816
	;; [unrolled: 2-line block ×4, first 2 shown]
	s_and_saveexec_b32 s4, s0
	s_cbranch_execz .LBB0_14
; %bb.13:
	v_add_co_u32 v1, s0, 0xa000, v1
	s_delay_alu instid0(VALU_DEP_1)
	v_add_co_ci_u32_e64 v2, s0, 0, v2, s0
	v_dual_mov_b32 v5, 0 :: v_dual_mov_b32 v24, 0x7f
	global_load_b128 v[1:4], v[1:2], off
	s_waitcnt vmcnt(0)
	ds_store_b128 v5, v[1:4] offset:40960
.LBB0_14:
	s_or_b32 exec_lo, exec_lo, s4
.LBB0_15:
	s_delay_alu instid0(SALU_CYCLE_1)
	s_or_b32 exec_lo, exec_lo, s1
	v_lshlrev_b32_e32 v1, 4, v24
	s_waitcnt lgkmcnt(0)
	s_barrier
	buffer_gl0_inv
	s_add_u32 s4, s8, 0x9fc0
	v_add_nc_u32_e32 v48, 0, v1
	v_sub_nc_u32_e32 v11, 0, v1
	s_addc_u32 s5, s9, 0
	s_mov_b32 s1, exec_lo
                                        ; implicit-def: $vgpr5_vgpr6
	ds_load_b64 v[7:8], v48
	ds_load_b64 v[9:10], v11 offset:40960
	s_waitcnt lgkmcnt(0)
	v_add_f64 v[1:2], v[7:8], v[9:10]
	v_add_f64 v[3:4], v[7:8], -v[9:10]
	v_cmpx_ne_u32_e32 0, v24
	s_xor_b32 s1, exec_lo, s1
	s_cbranch_execz .LBB0_17
; %bb.16:
	v_mov_b32_e32 v25, 0
	v_add_f64 v[14:15], v[7:8], v[9:10]
	v_add_f64 v[16:17], v[7:8], -v[9:10]
	s_delay_alu instid0(VALU_DEP_3) | instskip(NEXT) | instid1(VALU_DEP_1)
	v_lshlrev_b64 v[1:2], 4, v[24:25]
	v_add_co_u32 v1, s0, s4, v1
	s_delay_alu instid0(VALU_DEP_1)
	v_add_co_ci_u32_e64 v2, s0, s5, v2, s0
	global_load_b128 v[3:6], v[1:2], off
	ds_load_b64 v[1:2], v11 offset:40968
	ds_load_b64 v[12:13], v48 offset:8
	s_waitcnt lgkmcnt(0)
	v_add_f64 v[7:8], v[1:2], v[12:13]
	v_add_f64 v[1:2], v[12:13], -v[1:2]
	s_waitcnt vmcnt(0)
	v_fma_f64 v[9:10], v[16:17], v[5:6], v[14:15]
	v_fma_f64 v[12:13], -v[16:17], v[5:6], v[14:15]
	s_delay_alu instid0(VALU_DEP_3) | instskip(SKIP_1) | instid1(VALU_DEP_4)
	v_fma_f64 v[14:15], v[7:8], v[5:6], -v[1:2]
	v_fma_f64 v[5:6], v[7:8], v[5:6], v[1:2]
	v_fma_f64 v[1:2], -v[7:8], v[3:4], v[9:10]
	s_delay_alu instid0(VALU_DEP_4) | instskip(NEXT) | instid1(VALU_DEP_4)
	v_fma_f64 v[7:8], v[7:8], v[3:4], v[12:13]
	v_fma_f64 v[9:10], v[16:17], v[3:4], v[14:15]
	s_delay_alu instid0(VALU_DEP_4)
	v_fma_f64 v[3:4], v[16:17], v[3:4], v[5:6]
	v_dual_mov_b32 v5, v24 :: v_dual_mov_b32 v6, v25
	ds_store_b128 v11, v[7:10] offset:40960
.LBB0_17:
	s_and_not1_saveexec_b32 s0, s1
	s_cbranch_execz .LBB0_19
; %bb.18:
	v_mov_b32_e32 v9, 0
	ds_load_b128 v[5:8], v9 offset:20480
	s_waitcnt lgkmcnt(0)
	v_add_f64 v[12:13], v[5:6], v[5:6]
	v_mul_f64 v[14:15], v[7:8], -2.0
	v_mov_b32_e32 v5, 0
	v_mov_b32_e32 v6, 0
	ds_store_b128 v9, v[12:15] offset:20480
.LBB0_19:
	s_or_b32 exec_lo, exec_lo, s0
	v_lshlrev_b64 v[5:6], 4, v[5:6]
	v_or_b32_e32 v26, 0x100, v24
	v_mov_b32_e32 v27, 0
	ds_store_b128 v48, v[1:4]
	v_or_b32_e32 v1, 0x180, v24
	v_lshl_or_b32 v25, v0, 4, 0x3800
	v_add_co_u32 v5, s0, s4, v5
	s_delay_alu instid0(VALU_DEP_1)
	v_add_co_ci_u32_e64 v6, s0, s5, v6, s0
	v_lshlrev_b64 v[9:10], 4, v[26:27]
	v_mov_b32_e32 v2, v27
	s_mov_b32 s10, 0x134454ff
	global_load_b128 v[5:8], v[5:6], off offset:2048
	s_mov_b32 s11, 0xbfee6f0e
	s_mov_b32 s1, 0x3fee6f0e
	v_add_co_u32 v9, s0, s4, v9
	s_delay_alu instid0(VALU_DEP_1)
	v_add_co_ci_u32_e64 v10, s0, s5, v10, s0
	v_lshlrev_b64 v[2:3], 4, v[1:2]
	s_mov_b32 s12, 0x4755a5e
	s_mov_b32 s13, 0xbfe2cf23
	global_load_b128 v[12:15], v[9:10], off
	ds_load_b128 v[16:19], v48 offset:2048
	ds_load_b128 v[28:31], v11 offset:38912
	s_mov_b32 s14, 0x372fe950
	v_add_co_u32 v2, s0, s4, v2
	s_delay_alu instid0(VALU_DEP_1)
	v_add_co_ci_u32_e64 v3, s0, s5, v3, s0
	s_mov_b32 s15, 0x3fd3c6ef
	s_mov_b32 s16, 0x9b97f4a8
	;; [unrolled: 1-line block ×3, first 2 shown]
	global_load_b128 v[32:35], v[2:3], off
	s_mov_b32 s19, 0xbfd3c6ef
	s_mov_b32 s18, s14
	;; [unrolled: 1-line block ×4, first 2 shown]
	s_waitcnt lgkmcnt(0)
	v_add_f64 v[9:10], v[16:17], v[28:29]
	v_add_f64 v[36:37], v[30:31], v[18:19]
	v_add_f64 v[16:17], v[16:17], -v[28:29]
	v_add_f64 v[2:3], v[18:19], -v[30:31]
	s_waitcnt vmcnt(2)
	s_delay_alu instid0(VALU_DEP_2) | instskip(NEXT) | instid1(VALU_DEP_2)
	v_fma_f64 v[18:19], v[16:17], v[7:8], v[9:10]
	v_fma_f64 v[28:29], v[36:37], v[7:8], v[2:3]
	v_fma_f64 v[30:31], -v[16:17], v[7:8], v[9:10]
	v_fma_f64 v[38:39], v[36:37], v[7:8], -v[2:3]
	v_or_b32_e32 v2, 0x200, v24
	v_fma_f64 v[7:8], -v[36:37], v[5:6], v[18:19]
	v_fma_f64 v[9:10], v[16:17], v[5:6], v[28:29]
	v_fma_f64 v[3:4], v[36:37], v[5:6], v[30:31]
	;; [unrolled: 1-line block ×3, first 2 shown]
	ds_store_b128 v48, v[7:10] offset:2048
	ds_store_b128 v11, v[3:6] offset:38912
	v_mov_b32_e32 v3, v27
	ds_load_b128 v[4:7], v48 offset:4096
	ds_load_b128 v[16:19], v11 offset:36864
	v_lshlrev_b64 v[8:9], 4, v[2:3]
	s_delay_alu instid0(VALU_DEP_1) | instskip(NEXT) | instid1(VALU_DEP_1)
	v_add_co_u32 v8, s0, s4, v8
	v_add_co_ci_u32_e64 v9, s0, s5, v9, s0
	global_load_b128 v[28:31], v[8:9], off
	s_waitcnt lgkmcnt(0)
	v_add_f64 v[8:9], v[4:5], v[16:17]
	v_add_f64 v[36:37], v[18:19], v[6:7]
	v_add_f64 v[16:17], v[4:5], -v[16:17]
	v_add_f64 v[3:4], v[6:7], -v[18:19]
	s_waitcnt vmcnt(2)
	s_delay_alu instid0(VALU_DEP_2) | instskip(NEXT) | instid1(VALU_DEP_2)
	v_fma_f64 v[5:6], v[16:17], v[14:15], v[8:9]
	v_fma_f64 v[18:19], v[36:37], v[14:15], v[3:4]
	v_fma_f64 v[7:8], -v[16:17], v[14:15], v[8:9]
	v_fma_f64 v[9:10], v[36:37], v[14:15], -v[3:4]
	s_delay_alu instid0(VALU_DEP_4) | instskip(NEXT) | instid1(VALU_DEP_4)
	v_fma_f64 v[3:4], -v[36:37], v[12:13], v[5:6]
	v_fma_f64 v[5:6], v[16:17], v[12:13], v[18:19]
	s_delay_alu instid0(VALU_DEP_4) | instskip(NEXT) | instid1(VALU_DEP_4)
	v_fma_f64 v[7:8], v[36:37], v[12:13], v[7:8]
	v_fma_f64 v[9:10], v[16:17], v[12:13], v[9:10]
	v_or_b32_e32 v12, 0x280, v24
	v_mov_b32_e32 v13, v27
	ds_store_b128 v48, v[3:6] offset:4096
	ds_store_b128 v11, v[7:10] offset:36864
	v_lshlrev_b64 v[12:13], 4, v[12:13]
	ds_load_b128 v[3:6], v48 offset:6144
	ds_load_b128 v[7:10], v11 offset:34816
	v_add_co_u32 v12, s0, s4, v12
	s_delay_alu instid0(VALU_DEP_1)
	v_add_co_ci_u32_e64 v13, s0, s5, v13, s0
	global_load_b128 v[12:15], v[12:13], off
	s_waitcnt lgkmcnt(0)
	v_add_f64 v[16:17], v[3:4], v[7:8]
	v_add_f64 v[18:19], v[9:10], v[5:6]
	v_add_f64 v[36:37], v[3:4], -v[7:8]
	v_add_f64 v[3:4], v[5:6], -v[9:10]
	s_waitcnt vmcnt(2)
	s_delay_alu instid0(VALU_DEP_2) | instskip(NEXT) | instid1(VALU_DEP_2)
	v_fma_f64 v[5:6], v[36:37], v[34:35], v[16:17]
	v_fma_f64 v[7:8], v[18:19], v[34:35], v[3:4]
	v_fma_f64 v[9:10], -v[36:37], v[34:35], v[16:17]
	v_fma_f64 v[16:17], v[18:19], v[34:35], -v[3:4]
	s_delay_alu instid0(VALU_DEP_4) | instskip(NEXT) | instid1(VALU_DEP_4)
	v_fma_f64 v[3:4], -v[18:19], v[32:33], v[5:6]
	v_fma_f64 v[5:6], v[36:37], v[32:33], v[7:8]
	s_delay_alu instid0(VALU_DEP_4) | instskip(NEXT) | instid1(VALU_DEP_4)
	v_fma_f64 v[7:8], v[18:19], v[32:33], v[9:10]
	v_fma_f64 v[9:10], v[36:37], v[32:33], v[16:17]
	v_or_b32_e32 v16, 0x300, v24
	v_mov_b32_e32 v17, v27
	ds_store_b128 v48, v[3:6] offset:6144
	ds_store_b128 v11, v[7:10] offset:34816
	v_lshlrev_b64 v[16:17], 4, v[16:17]
	ds_load_b128 v[3:6], v48 offset:8192
	ds_load_b128 v[7:10], v11 offset:32768
	v_add_co_u32 v16, s0, s4, v16
	s_delay_alu instid0(VALU_DEP_1)
	v_add_co_ci_u32_e64 v17, s0, s5, v17, s0
	global_load_b128 v[16:19], v[16:17], off
	s_waitcnt lgkmcnt(0)
	v_add_f64 v[32:33], v[3:4], v[7:8]
	v_add_f64 v[34:35], v[9:10], v[5:6]
	v_add_f64 v[36:37], v[3:4], -v[7:8]
	v_add_f64 v[3:4], v[5:6], -v[9:10]
	s_waitcnt vmcnt(2)
	s_delay_alu instid0(VALU_DEP_2) | instskip(NEXT) | instid1(VALU_DEP_2)
	v_fma_f64 v[5:6], v[36:37], v[30:31], v[32:33]
	v_fma_f64 v[7:8], v[34:35], v[30:31], v[3:4]
	v_fma_f64 v[9:10], -v[36:37], v[30:31], v[32:33]
	v_fma_f64 v[30:31], v[34:35], v[30:31], -v[3:4]
	s_delay_alu instid0(VALU_DEP_4) | instskip(NEXT) | instid1(VALU_DEP_4)
	v_fma_f64 v[3:4], -v[34:35], v[28:29], v[5:6]
	v_fma_f64 v[5:6], v[36:37], v[28:29], v[7:8]
	s_delay_alu instid0(VALU_DEP_4) | instskip(NEXT) | instid1(VALU_DEP_4)
	v_fma_f64 v[7:8], v[34:35], v[28:29], v[9:10]
	v_fma_f64 v[9:10], v[36:37], v[28:29], v[30:31]
	ds_store_b128 v48, v[3:6] offset:8192
	ds_store_b128 v11, v[7:10] offset:32768
	ds_load_b128 v[3:6], v48 offset:10240
	ds_load_b128 v[7:10], v11 offset:30720
	global_load_b128 v[28:31], v25, s[4:5]
	v_add_nc_u32_e32 v25, 0, v25
	s_waitcnt lgkmcnt(0)
	v_add_f64 v[32:33], v[3:4], v[7:8]
	v_add_f64 v[34:35], v[9:10], v[5:6]
	v_add_f64 v[36:37], v[3:4], -v[7:8]
	v_add_f64 v[3:4], v[5:6], -v[9:10]
	s_waitcnt vmcnt(2)
	s_delay_alu instid0(VALU_DEP_2) | instskip(NEXT) | instid1(VALU_DEP_2)
	v_fma_f64 v[5:6], v[36:37], v[14:15], v[32:33]
	v_fma_f64 v[7:8], v[34:35], v[14:15], v[3:4]
	v_fma_f64 v[9:10], -v[36:37], v[14:15], v[32:33]
	v_fma_f64 v[14:15], v[34:35], v[14:15], -v[3:4]
	s_delay_alu instid0(VALU_DEP_4) | instskip(NEXT) | instid1(VALU_DEP_4)
	v_fma_f64 v[3:4], -v[34:35], v[12:13], v[5:6]
	v_fma_f64 v[5:6], v[36:37], v[12:13], v[7:8]
	s_delay_alu instid0(VALU_DEP_4) | instskip(NEXT) | instid1(VALU_DEP_4)
	v_fma_f64 v[7:8], v[34:35], v[12:13], v[9:10]
	v_fma_f64 v[9:10], v[36:37], v[12:13], v[14:15]
	v_or_b32_e32 v12, 0x400, v24
	v_mov_b32_e32 v13, v27
	ds_store_b128 v48, v[3:6] offset:10240
	ds_store_b128 v11, v[7:10] offset:30720
	v_lshlrev_b64 v[12:13], 4, v[12:13]
	ds_load_b128 v[3:6], v48 offset:12288
	ds_load_b128 v[7:10], v11 offset:28672
	v_add_co_u32 v12, s0, s4, v12
	s_delay_alu instid0(VALU_DEP_1)
	v_add_co_ci_u32_e64 v13, s0, s5, v13, s0
	global_load_b128 v[12:15], v[12:13], off
	s_waitcnt lgkmcnt(0)
	v_add_f64 v[32:33], v[3:4], v[7:8]
	v_add_f64 v[34:35], v[9:10], v[5:6]
	v_add_f64 v[36:37], v[3:4], -v[7:8]
	v_add_f64 v[3:4], v[5:6], -v[9:10]
	s_waitcnt vmcnt(2)
	s_delay_alu instid0(VALU_DEP_2) | instskip(NEXT) | instid1(VALU_DEP_2)
	v_fma_f64 v[5:6], v[36:37], v[18:19], v[32:33]
	v_fma_f64 v[7:8], v[34:35], v[18:19], v[3:4]
	v_fma_f64 v[9:10], -v[36:37], v[18:19], v[32:33]
	v_fma_f64 v[18:19], v[34:35], v[18:19], -v[3:4]
	s_delay_alu instid0(VALU_DEP_4) | instskip(NEXT) | instid1(VALU_DEP_4)
	v_fma_f64 v[3:4], -v[34:35], v[16:17], v[5:6]
	v_fma_f64 v[5:6], v[36:37], v[16:17], v[7:8]
	s_delay_alu instid0(VALU_DEP_4) | instskip(NEXT) | instid1(VALU_DEP_4)
	v_fma_f64 v[7:8], v[34:35], v[16:17], v[9:10]
	v_fma_f64 v[9:10], v[36:37], v[16:17], v[18:19]
	v_or_b32_e32 v16, 0x480, v24
	v_mov_b32_e32 v17, v27
	ds_store_b128 v48, v[3:6] offset:12288
	ds_store_b128 v11, v[7:10] offset:28672
	v_lshlrev_b64 v[16:17], 4, v[16:17]
	ds_load_b128 v[3:6], v25
	ds_load_b128 v[7:10], v11 offset:26624
	v_add_co_u32 v16, s0, s4, v16
	s_delay_alu instid0(VALU_DEP_1)
	v_add_co_ci_u32_e64 v17, s0, s5, v17, s0
	s_mov_b32 s0, s10
	s_mov_b32 s5, 0x3fe2cf23
	;; [unrolled: 1-line block ×3, first 2 shown]
	global_load_b128 v[16:19], v[16:17], off
	s_waitcnt lgkmcnt(0)
	v_add_f64 v[32:33], v[3:4], v[7:8]
	v_add_f64 v[34:35], v[9:10], v[5:6]
	v_add_f64 v[36:37], v[3:4], -v[7:8]
	v_add_f64 v[3:4], v[5:6], -v[9:10]
	s_waitcnt vmcnt(2)
	s_delay_alu instid0(VALU_DEP_2) | instskip(NEXT) | instid1(VALU_DEP_2)
	v_fma_f64 v[5:6], v[36:37], v[30:31], v[32:33]
	v_fma_f64 v[7:8], v[34:35], v[30:31], v[3:4]
	v_fma_f64 v[9:10], -v[36:37], v[30:31], v[32:33]
	v_fma_f64 v[30:31], v[34:35], v[30:31], -v[3:4]
	s_delay_alu instid0(VALU_DEP_4) | instskip(NEXT) | instid1(VALU_DEP_4)
	v_fma_f64 v[3:4], -v[34:35], v[28:29], v[5:6]
	v_fma_f64 v[5:6], v[36:37], v[28:29], v[7:8]
	s_delay_alu instid0(VALU_DEP_4) | instskip(NEXT) | instid1(VALU_DEP_4)
	v_fma_f64 v[7:8], v[34:35], v[28:29], v[9:10]
	v_fma_f64 v[9:10], v[36:37], v[28:29], v[30:31]
	ds_store_b128 v25, v[3:6]
	ds_store_b128 v11, v[7:10] offset:26624
	ds_load_b128 v[3:6], v48 offset:16384
	ds_load_b128 v[7:10], v11 offset:24576
	v_mad_u32_u24 v25, v24, 48, v48
	s_waitcnt lgkmcnt(0)
	v_add_f64 v[28:29], v[3:4], v[7:8]
	v_add_f64 v[30:31], v[9:10], v[5:6]
	v_add_f64 v[32:33], v[3:4], -v[7:8]
	v_add_f64 v[3:4], v[5:6], -v[9:10]
	s_waitcnt vmcnt(1)
	s_delay_alu instid0(VALU_DEP_2) | instskip(NEXT) | instid1(VALU_DEP_2)
	v_fma_f64 v[5:6], v[32:33], v[14:15], v[28:29]
	v_fma_f64 v[7:8], v[30:31], v[14:15], v[3:4]
	v_fma_f64 v[9:10], -v[32:33], v[14:15], v[28:29]
	v_fma_f64 v[14:15], v[30:31], v[14:15], -v[3:4]
	s_delay_alu instid0(VALU_DEP_4) | instskip(NEXT) | instid1(VALU_DEP_4)
	v_fma_f64 v[3:4], -v[30:31], v[12:13], v[5:6]
	v_fma_f64 v[5:6], v[32:33], v[12:13], v[7:8]
	s_delay_alu instid0(VALU_DEP_4) | instskip(NEXT) | instid1(VALU_DEP_4)
	v_fma_f64 v[7:8], v[30:31], v[12:13], v[9:10]
	v_fma_f64 v[9:10], v[32:33], v[12:13], v[14:15]
	ds_store_b128 v48, v[3:6] offset:16384
	ds_store_b128 v11, v[7:10] offset:24576
	ds_load_b128 v[3:6], v48 offset:18432
	ds_load_b128 v[7:10], v11 offset:22528
	s_waitcnt lgkmcnt(0)
	v_add_f64 v[12:13], v[3:4], v[7:8]
	v_add_f64 v[14:15], v[9:10], v[5:6]
	v_add_f64 v[28:29], v[3:4], -v[7:8]
	v_add_f64 v[3:4], v[5:6], -v[9:10]
	s_waitcnt vmcnt(0)
	s_delay_alu instid0(VALU_DEP_2) | instskip(NEXT) | instid1(VALU_DEP_2)
	v_fma_f64 v[5:6], v[28:29], v[18:19], v[12:13]
	v_fma_f64 v[7:8], v[14:15], v[18:19], v[3:4]
	v_fma_f64 v[9:10], -v[28:29], v[18:19], v[12:13]
	v_fma_f64 v[12:13], v[14:15], v[18:19], -v[3:4]
	s_delay_alu instid0(VALU_DEP_4) | instskip(NEXT) | instid1(VALU_DEP_4)
	v_fma_f64 v[3:4], -v[14:15], v[16:17], v[5:6]
	v_fma_f64 v[5:6], v[28:29], v[16:17], v[7:8]
	s_delay_alu instid0(VALU_DEP_4) | instskip(NEXT) | instid1(VALU_DEP_4)
	v_fma_f64 v[7:8], v[14:15], v[16:17], v[9:10]
	v_fma_f64 v[9:10], v[28:29], v[16:17], v[12:13]
	ds_store_b128 v48, v[3:6] offset:18432
	ds_store_b128 v11, v[7:10] offset:22528
	s_waitcnt lgkmcnt(0)
	s_barrier
	buffer_gl0_inv
	s_barrier
	buffer_gl0_inv
	ds_load_b128 v[3:6], v48 offset:20480
	ds_load_b128 v[7:10], v48
	ds_load_b128 v[11:14], v48 offset:10240
	ds_load_b128 v[15:18], v48 offset:30720
	;; [unrolled: 1-line block ×18, first 2 shown]
	s_waitcnt lgkmcnt(0)
	v_add_f64 v[93:94], v[7:8], -v[3:4]
	v_add_f64 v[95:96], v[9:10], -v[5:6]
	;; [unrolled: 1-line block ×20, first 2 shown]
	s_barrier
	buffer_gl0_inv
	v_fma_f64 v[65:66], v[7:8], 2.0, -v[93:94]
	v_fma_f64 v[67:68], v[9:10], 2.0, -v[95:96]
	v_fma_f64 v[10:11], v[11:12], 2.0, -v[5:6]
	v_fma_f64 v[17:18], v[13:14], 2.0, -v[3:4]
	v_fma_f64 v[73:74], v[28:29], 2.0, -v[97:98]
	v_fma_f64 v[75:76], v[30:31], 2.0, -v[99:100]
	v_fma_f64 v[28:29], v[40:41], 2.0, -v[32:33]
	v_fma_f64 v[30:31], v[42:43], 2.0, -v[15:16]
	v_fma_f64 v[81:82], v[44:45], 2.0, -v[101:102]
	v_fma_f64 v[83:84], v[46:47], 2.0, -v[103:104]
	v_fma_f64 v[40:41], v[53:54], 2.0, -v[36:37]
	v_fma_f64 v[42:43], v[55:56], 2.0, -v[34:35]
	v_fma_f64 v[89:90], v[61:62], 2.0, -v[105:106]
	v_fma_f64 v[91:92], v[63:64], 2.0, -v[107:108]
	v_fma_f64 v[44:45], v[69:70], 2.0, -v[38:39]
	v_fma_f64 v[46:47], v[71:72], 2.0, -v[49:50]
	v_fma_f64 v[113:114], v[77:78], 2.0, -v[109:110]
	v_fma_f64 v[115:116], v[79:80], 2.0, -v[111:112]
	v_fma_f64 v[53:54], v[85:86], 2.0, -v[57:58]
	v_fma_f64 v[55:56], v[87:88], 2.0, -v[51:52]
	v_add_f64 v[3:4], v[93:94], v[3:4]
	v_add_f64 v[5:6], v[95:96], -v[5:6]
	v_add_f64 v[8:9], v[97:98], v[15:16]
	v_add_f64 v[38:39], v[107:108], -v[38:39]
	v_and_b32_e32 v7, 3, v0
	v_add_f64 v[12:13], v[65:66], -v[10:11]
	v_add_f64 v[14:15], v[67:68], -v[17:18]
	;; [unrolled: 1-line block ×5, first 2 shown]
	v_add_f64 v[28:29], v[101:102], v[34:35]
	v_add_f64 v[30:31], v[103:104], -v[36:37]
	v_add_f64 v[32:33], v[81:82], -v[40:41]
	v_add_f64 v[34:35], v[83:84], -v[42:43]
	v_add_f64 v[36:37], v[105:106], v[49:50]
	v_or_b32_e32 v49, 0x80, v24
	v_add_f64 v[40:41], v[89:90], -v[44:45]
	v_add_f64 v[42:43], v[91:92], -v[46:47]
	v_add_f64 v[44:45], v[109:110], v[51:52]
	v_add_f64 v[46:47], v[111:112], -v[57:58]
	v_add_f64 v[50:51], v[113:114], -v[53:54]
	;; [unrolled: 1-line block ×3, first 2 shown]
	v_fma_f64 v[54:55], v[93:94], 2.0, -v[3:4]
	v_fma_f64 v[56:57], v[95:96], 2.0, -v[5:6]
	;; [unrolled: 1-line block ×3, first 2 shown]
	v_mul_u32_u24_e32 v94, 3, v7
	v_lshl_add_u32 v95, v49, 6, 0
	v_lshl_add_u32 v96, v26, 6, 0
	;; [unrolled: 1-line block ×4, first 2 shown]
	v_lshlrev_b32_e32 v94, 4, v94
	v_lshlrev_b32_e32 v1, 2, v1
	;; [unrolled: 1-line block ×3, first 2 shown]
	v_fma_f64 v[62:63], v[65:66], 2.0, -v[12:13]
	v_fma_f64 v[64:65], v[67:68], 2.0, -v[14:15]
	;; [unrolled: 1-line block ×17, first 2 shown]
	ds_store_b128 v25, v[3:6] offset:48
	ds_store_b128 v25, v[12:15] offset:32
	;; [unrolled: 1-line block ×3, first 2 shown]
	ds_store_b128 v25, v[62:65]
	ds_store_b128 v95, v[66:69]
	ds_store_b128 v95, v[58:61] offset:16
	ds_store_b128 v95, v[16:19] offset:32
	ds_store_b128 v95, v[8:11] offset:48
	ds_store_b128 v96, v[74:77]
	ds_store_b128 v96, v[70:73] offset:16
	ds_store_b128 v96, v[32:35] offset:32
	ds_store_b128 v96, v[28:31] offset:48
	;; [unrolled: 4-line block ×4, first 2 shown]
	s_waitcnt lgkmcnt(0)
	s_barrier
	buffer_gl0_inv
	s_clause 0x2
	global_load_b128 v[3:6], v94, s[8:9]
	global_load_b128 v[8:11], v94, s[8:9] offset:16
	global_load_b128 v[12:15], v94, s[8:9] offset:32
	ds_load_b128 v[16:19], v48 offset:10240
	ds_load_b128 v[28:31], v48 offset:12288
	;; [unrolled: 1-line block ×16, first 2 shown]
	s_waitcnt vmcnt(2) lgkmcnt(15)
	v_mul_f64 v[90:91], v[18:19], v[5:6]
	v_mul_f64 v[92:93], v[16:17], v[5:6]
	s_waitcnt lgkmcnt(14)
	v_mul_f64 v[94:95], v[30:31], v[5:6]
	s_waitcnt vmcnt(1) lgkmcnt(9)
	v_mul_f64 v[108:109], v[52:53], v[10:11]
	v_mul_f64 v[110:111], v[50:51], v[10:11]
	s_waitcnt vmcnt(0) lgkmcnt(8)
	v_mul_f64 v[112:113], v[56:57], v[14:15]
	v_mul_f64 v[114:115], v[54:55], v[14:15]
	;; [unrolled: 1-line block ×3, first 2 shown]
	s_waitcnt lgkmcnt(7)
	v_mul_f64 v[116:117], v[60:61], v[10:11]
	v_mul_f64 v[118:119], v[58:59], v[10:11]
	s_waitcnt lgkmcnt(3)
	v_mul_f64 v[128:129], v[76:77], v[14:15]
	v_mul_f64 v[130:131], v[74:75], v[14:15]
	;; [unrolled: 1-line block ×6, first 2 shown]
	s_waitcnt lgkmcnt(2)
	v_mul_f64 v[134:135], v[80:81], v[14:15]
	v_mul_f64 v[136:137], v[78:79], v[14:15]
	;; [unrolled: 1-line block ×10, first 2 shown]
	v_fma_f64 v[90:91], v[16:17], v[3:4], v[90:91]
	v_fma_f64 v[92:93], v[18:19], v[3:4], -v[92:93]
	s_waitcnt lgkmcnt(1)
	v_mul_f64 v[16:17], v[84:85], v[14:15]
	v_mul_f64 v[18:19], v[82:83], v[14:15]
	v_fma_f64 v[28:29], v[28:29], v[3:4], v[94:95]
	s_waitcnt lgkmcnt(0)
	v_mul_f64 v[94:95], v[88:89], v[14:15]
	v_mul_f64 v[14:15], v[86:87], v[14:15]
	v_fma_f64 v[50:51], v[50:51], v[8:9], v[108:109]
	v_fma_f64 v[52:53], v[52:53], v[8:9], -v[110:111]
	v_fma_f64 v[54:55], v[54:55], v[12:13], v[112:113]
	v_fma_f64 v[56:57], v[56:57], v[12:13], -v[114:115]
	v_fma_f64 v[30:31], v[30:31], v[3:4], -v[96:97]
	v_fma_f64 v[58:59], v[58:59], v[8:9], v[116:117]
	v_fma_f64 v[60:61], v[60:61], v[8:9], -v[118:119]
	v_fma_f64 v[74:75], v[74:75], v[12:13], v[128:129]
	v_fma_f64 v[76:77], v[76:77], v[12:13], -v[130:131]
	v_fma_f64 v[32:33], v[32:33], v[3:4], v[98:99]
	v_fma_f64 v[34:35], v[34:35], v[3:4], -v[100:101]
	v_fma_f64 v[62:63], v[62:63], v[8:9], v[120:121]
	v_fma_f64 v[64:65], v[64:65], v[8:9], -v[122:123]
	v_fma_f64 v[78:79], v[78:79], v[12:13], v[134:135]
	v_fma_f64 v[80:81], v[80:81], v[12:13], -v[136:137]
	v_fma_f64 v[36:37], v[36:37], v[3:4], v[102:103]
	v_fma_f64 v[38:39], v[38:39], v[3:4], -v[104:105]
	v_fma_f64 v[66:67], v[66:67], v[8:9], v[124:125]
	v_fma_f64 v[68:69], v[68:69], v[8:9], -v[126:127]
	v_fma_f64 v[40:41], v[40:41], v[3:4], v[106:107]
	v_fma_f64 v[42:43], v[42:43], v[3:4], -v[5:6]
	v_fma_f64 v[70:71], v[70:71], v[8:9], v[132:133]
	v_fma_f64 v[72:73], v[72:73], v[8:9], -v[10:11]
	ds_load_b128 v[3:6], v48
	v_fma_f64 v[82:83], v[82:83], v[12:13], v[16:17]
	v_fma_f64 v[84:85], v[84:85], v[12:13], -v[18:19]
	v_fma_f64 v[86:87], v[86:87], v[12:13], v[94:95]
	v_fma_f64 v[88:89], v[88:89], v[12:13], -v[14:15]
	ds_load_b128 v[8:11], v48 offset:2048
	ds_load_b128 v[12:15], v48 offset:4096
	;; [unrolled: 1-line block ×3, first 2 shown]
	s_waitcnt lgkmcnt(0)
	s_barrier
	buffer_gl0_inv
	v_add_f64 v[94:95], v[3:4], -v[50:51]
	v_add_f64 v[96:97], v[5:6], -v[52:53]
	v_add_f64 v[50:51], v[90:91], -v[54:55]
	v_add_f64 v[52:53], v[92:93], -v[56:57]
	v_add_f64 v[54:55], v[28:29], -v[74:75]
	v_add_f64 v[56:57], v[30:31], -v[76:77]
	v_add_f64 v[98:99], v[8:9], -v[58:59]
	v_add_f64 v[100:101], v[10:11], -v[60:61]
	v_add_f64 v[74:75], v[12:13], -v[62:63]
	v_add_f64 v[76:77], v[14:15], -v[64:65]
	v_add_f64 v[58:59], v[32:33], -v[78:79]
	v_add_f64 v[60:61], v[34:35], -v[80:81]
	v_add_f64 v[78:79], v[16:17], -v[66:67]
	v_add_f64 v[80:81], v[18:19], -v[68:69]
	v_add_f64 v[62:63], v[36:37], -v[82:83]
	v_add_f64 v[64:65], v[38:39], -v[84:85]
	v_add_f64 v[82:83], v[44:45], -v[70:71]
	v_add_f64 v[84:85], v[46:47], -v[72:73]
	v_add_f64 v[66:67], v[40:41], -v[86:87]
	v_add_f64 v[68:69], v[42:43], -v[88:89]
	v_fma_f64 v[86:87], v[3:4], 2.0, -v[94:95]
	v_fma_f64 v[5:6], v[5:6], 2.0, -v[96:97]
	;; [unrolled: 1-line block ×14, first 2 shown]
	v_add_f64 v[8:9], v[94:95], v[52:53]
	v_add_f64 v[10:11], v[96:97], -v[50:51]
	v_add_f64 v[12:13], v[98:99], v[56:57]
	v_add_f64 v[14:15], v[100:101], -v[54:55]
	;; [unrolled: 2-line block ×3, first 2 shown]
	v_fma_f64 v[114:115], v[36:37], 2.0, -v[62:63]
	v_fma_f64 v[116:117], v[38:39], 2.0, -v[64:65]
	;; [unrolled: 1-line block ×6, first 2 shown]
	v_add_f64 v[28:29], v[78:79], v[64:65]
	v_add_f64 v[30:31], v[80:81], -v[62:63]
	v_add_f64 v[32:33], v[82:83], v[68:69]
	v_add_f64 v[34:35], v[84:85], -v[66:67]
	v_add_f64 v[36:37], v[86:87], -v[3:4]
	v_add_f64 v[38:39], v[5:6], -v[70:71]
	v_lshlrev_b32_e32 v3, 2, v24
	v_and_b32_e32 v4, 15, v0
	s_delay_alu instid0(VALU_DEP_2) | instskip(SKIP_2) | instid1(VALU_DEP_3)
	v_and_or_b32 v25, 0x1f0, v3, v7
	v_add_f64 v[40:41], v[88:89], -v[72:73]
	v_add_f64 v[42:43], v[90:91], -v[92:93]
	v_lshl_add_u32 v25, v25, 4, 0
	v_add_f64 v[44:45], v[102:103], -v[106:107]
	v_add_f64 v[46:47], v[104:105], -v[108:109]
	v_fma_f64 v[58:59], v[94:95], 2.0, -v[8:9]
	v_fma_f64 v[60:61], v[96:97], 2.0, -v[10:11]
	;; [unrolled: 1-line block ×6, first 2 shown]
	v_and_or_b32 v100, 0x7f0, v1, v7
	v_add_f64 v[50:51], v[110:111], -v[114:115]
	v_add_f64 v[52:53], v[112:113], -v[116:117]
	v_and_or_b32 v1, 0x7c0, v1, v4
	v_add_f64 v[54:55], v[118:119], -v[122:123]
	v_add_f64 v[56:57], v[120:121], -v[124:125]
	v_fma_f64 v[70:71], v[78:79], 2.0, -v[28:29]
	v_fma_f64 v[72:73], v[80:81], 2.0, -v[30:31]
	v_fma_f64 v[74:75], v[82:83], 2.0, -v[32:33]
	v_fma_f64 v[76:77], v[84:85], 2.0, -v[34:35]
	v_lshl_add_u32 v100, v100, 4, 0
	v_lshl_add_u32 v1, v1, 4, 0
	v_fma_f64 v[78:79], v[86:87], 2.0, -v[36:37]
	v_fma_f64 v[80:81], v[5:6], 2.0, -v[38:39]
	v_lshlrev_b32_e32 v5, 2, v49
	v_lshlrev_b32_e32 v6, 2, v26
	v_mul_u32_u24_e32 v26, 3, v4
	v_lshrrev_b32_e32 v49, 6, v49
	s_delay_alu instid0(VALU_DEP_4) | instskip(NEXT) | instid1(VALU_DEP_4)
	v_and_or_b32 v98, 0x3f0, v5, v7
	v_and_or_b32 v99, 0x5f0, v6, v7
	;; [unrolled: 1-line block ×3, first 2 shown]
	v_lshlrev_b32_e32 v26, 4, v26
	v_fma_f64 v[82:83], v[88:89], 2.0, -v[40:41]
	v_fma_f64 v[84:85], v[90:91], 2.0, -v[42:43]
	v_lshl_add_u32 v98, v98, 4, 0
	v_lshl_add_u32 v99, v99, 4, 0
	v_fma_f64 v[86:87], v[102:103], 2.0, -v[44:45]
	v_fma_f64 v[88:89], v[104:105], 2.0, -v[46:47]
	v_lshl_add_u32 v7, v7, 4, 0
	v_and_or_b32 v5, 0x3c0, v5, v4
	v_and_or_b32 v6, 0x5c0, v6, v4
	;; [unrolled: 1-line block ×3, first 2 shown]
	s_delay_alu instid0(VALU_DEP_1)
	v_lshl_add_u32 v2, v2, 4, 0
	v_fma_f64 v[90:91], v[110:111], 2.0, -v[50:51]
	v_fma_f64 v[92:93], v[112:113], 2.0, -v[52:53]
	;; [unrolled: 1-line block ×4, first 2 shown]
	ds_store_b128 v25, v[8:11] offset:192
	ds_store_b128 v25, v[36:39] offset:128
	;; [unrolled: 1-line block ×11, first 2 shown]
	ds_store_b128 v25, v[78:81]
	ds_store_b128 v98, v[62:65] offset:64
	ds_store_b128 v98, v[82:85]
	ds_store_b128 v99, v[66:69] offset:64
	;; [unrolled: 2-line block ×4, first 2 shown]
	ds_store_b128 v7, v[94:97]
	s_waitcnt lgkmcnt(0)
	s_barrier
	buffer_gl0_inv
	s_clause 0x2
	global_load_b128 v[7:10], v26, s[8:9] offset:192
	global_load_b128 v[11:14], v26, s[8:9] offset:208
	;; [unrolled: 1-line block ×3, first 2 shown]
	ds_load_b128 v[28:31], v48 offset:10240
	ds_load_b128 v[32:35], v48 offset:12288
	;; [unrolled: 1-line block ×16, first 2 shown]
	s_waitcnt vmcnt(2) lgkmcnt(15)
	v_mul_f64 v[25:26], v[30:31], v[9:10]
	v_mul_f64 v[94:95], v[28:29], v[9:10]
	s_waitcnt lgkmcnt(14)
	v_mul_f64 v[96:97], v[34:35], v[9:10]
	s_waitcnt vmcnt(1) lgkmcnt(9)
	v_mul_f64 v[110:111], v[56:57], v[13:14]
	v_mul_f64 v[112:113], v[54:55], v[13:14]
	s_waitcnt vmcnt(0) lgkmcnt(7)
	v_mul_f64 v[118:119], v[64:65], v[17:18]
	v_mul_f64 v[120:121], v[62:63], v[17:18]
	;; [unrolled: 1-line block ×5, first 2 shown]
	s_waitcnt lgkmcnt(3)
	v_mul_f64 v[132:133], v[80:81], v[17:18]
	v_mul_f64 v[134:135], v[78:79], v[17:18]
	;; [unrolled: 1-line block ×6, first 2 shown]
	s_waitcnt lgkmcnt(2)
	v_mul_f64 v[136:137], v[84:85], v[17:18]
	v_mul_f64 v[138:139], v[82:83], v[17:18]
	;; [unrolled: 1-line block ×10, first 2 shown]
	v_fma_f64 v[25:26], v[28:29], v[7:8], v[25:26]
	v_fma_f64 v[94:95], v[30:31], v[7:8], -v[94:95]
	s_waitcnt lgkmcnt(1)
	v_mul_f64 v[28:29], v[88:89], v[17:18]
	v_mul_f64 v[30:31], v[86:87], v[17:18]
	v_fma_f64 v[32:33], v[32:33], v[7:8], v[96:97]
	s_waitcnt lgkmcnt(0)
	v_mul_f64 v[96:97], v[92:93], v[17:18]
	v_mul_f64 v[17:18], v[90:91], v[17:18]
	v_fma_f64 v[54:55], v[54:55], v[11:12], v[110:111]
	v_fma_f64 v[56:57], v[56:57], v[11:12], -v[112:113]
	v_fma_f64 v[62:63], v[62:63], v[15:16], v[118:119]
	v_fma_f64 v[64:65], v[64:65], v[15:16], -v[120:121]
	v_fma_f64 v[34:35], v[34:35], v[7:8], -v[98:99]
	v_fma_f64 v[58:59], v[58:59], v[11:12], v[114:115]
	v_fma_f64 v[60:61], v[60:61], v[11:12], -v[116:117]
	v_fma_f64 v[78:79], v[78:79], v[15:16], v[132:133]
	;; [unrolled: 2-line block ×9, first 2 shown]
	v_fma_f64 v[76:77], v[76:77], v[11:12], -v[13:14]
	ds_load_b128 v[7:10], v48
	v_fma_f64 v[86:87], v[86:87], v[15:16], v[28:29]
	v_fma_f64 v[88:89], v[88:89], v[15:16], -v[30:31]
	v_fma_f64 v[90:91], v[90:91], v[15:16], v[96:97]
	v_fma_f64 v[92:93], v[92:93], v[15:16], -v[17:18]
	ds_load_b128 v[11:14], v48 offset:2048
	ds_load_b128 v[15:18], v48 offset:4096
	;; [unrolled: 1-line block ×3, first 2 shown]
	s_waitcnt lgkmcnt(0)
	s_barrier
	buffer_gl0_inv
	v_add_f64 v[96:97], v[7:8], -v[54:55]
	v_add_f64 v[98:99], v[9:10], -v[56:57]
	;; [unrolled: 1-line block ×20, first 2 shown]
	v_fma_f64 v[90:91], v[7:8], 2.0, -v[96:97]
	v_fma_f64 v[92:93], v[9:10], 2.0, -v[98:99]
	;; [unrolled: 1-line block ×4, first 2 shown]
	v_add_f64 v[7:8], v[96:97], v[56:57]
	v_add_f64 v[9:10], v[98:99], -v[54:55]
	v_fma_f64 v[102:103], v[11:12], 2.0, -v[63:64]
	v_fma_f64 v[104:105], v[13:14], 2.0, -v[100:101]
	v_fma_f64 v[106:107], v[32:33], 2.0, -v[58:59]
	v_fma_f64 v[108:109], v[34:35], 2.0, -v[60:61]
	v_fma_f64 v[110:111], v[15:16], 2.0, -v[78:79]
	v_fma_f64 v[112:113], v[17:18], 2.0, -v[80:81]
	v_fma_f64 v[114:115], v[36:37], 2.0, -v[65:66]
	v_fma_f64 v[116:117], v[38:39], 2.0, -v[67:68]
	v_fma_f64 v[118:119], v[28:29], 2.0, -v[82:83]
	v_fma_f64 v[120:121], v[30:31], 2.0, -v[84:85]
	v_add_f64 v[15:16], v[78:79], v[67:68]
	v_add_f64 v[17:18], v[80:81], -v[65:66]
	v_add_f64 v[11:12], v[63:64], v[60:61]
	v_add_f64 v[13:14], v[100:101], -v[58:59]
	v_fma_f64 v[122:123], v[40:41], 2.0, -v[69:70]
	v_fma_f64 v[124:125], v[42:43], 2.0, -v[71:72]
	;; [unrolled: 1-line block ×3, first 2 shown]
	v_and_b32_e32 v50, 63, v0
	v_fma_f64 v[128:129], v[52:53], 2.0, -v[88:89]
	v_fma_f64 v[130:131], v[44:45], 2.0, -v[73:74]
	;; [unrolled: 1-line block ×3, first 2 shown]
	v_add_f64 v[28:29], v[82:83], v[71:72]
	v_add_f64 v[30:31], v[84:85], -v[69:70]
	v_add_f64 v[32:33], v[86:87], v[75:76]
	v_add_f64 v[34:35], v[88:89], -v[73:74]
	v_and_or_b32 v0, 0x1c0, v3, v4
	v_add_f64 v[36:37], v[90:91], -v[25:26]
	v_add_f64 v[38:39], v[92:93], -v[94:95]
	v_fma_f64 v[59:60], v[96:97], 2.0, -v[7:8]
	v_fma_f64 v[61:62], v[98:99], 2.0, -v[9:10]
	v_mul_u32_u24_e32 v3, 9, v50
	v_lshl_add_u32 v0, v0, 4, 0
	v_lshl_add_u32 v4, v6, 4, 0
	s_delay_alu instid0(VALU_DEP_3)
	v_lshlrev_b32_e32 v19, 4, v3
	v_lshl_add_u32 v3, v5, 4, 0
	v_add_f64 v[40:41], v[102:103], -v[106:107]
	v_add_f64 v[42:43], v[104:105], -v[108:109]
	;; [unrolled: 1-line block ×4, first 2 shown]
	v_fma_f64 v[67:68], v[78:79], 2.0, -v[15:16]
	v_fma_f64 v[69:70], v[80:81], 2.0, -v[17:18]
	v_fma_f64 v[63:64], v[63:64], 2.0, -v[11:12]
	v_fma_f64 v[65:66], v[100:101], 2.0, -v[13:14]
	v_add_f64 v[51:52], v[118:119], -v[122:123]
	v_add_f64 v[53:54], v[120:121], -v[124:125]
	;; [unrolled: 1-line block ×4, first 2 shown]
	v_fma_f64 v[71:72], v[82:83], 2.0, -v[28:29]
	v_fma_f64 v[73:74], v[84:85], 2.0, -v[30:31]
	;; [unrolled: 1-line block ×14, first 2 shown]
	ds_store_b128 v0, v[7:10] offset:768
	ds_store_b128 v0, v[36:39] offset:512
	;; [unrolled: 1-line block ×11, first 2 shown]
	ds_store_b128 v0, v[79:82]
	ds_store_b128 v3, v[63:66] offset:256
	ds_store_b128 v3, v[83:86]
	ds_store_b128 v4, v[67:70] offset:256
	;; [unrolled: 2-line block ×4, first 2 shown]
	ds_store_b128 v2, v[95:98]
	s_waitcnt lgkmcnt(0)
	s_barrier
	buffer_gl0_inv
	s_clause 0x8
	global_load_b128 v[28:31], v19, s[8:9] offset:976
	global_load_b128 v[36:39], v19, s[8:9] offset:1008
	;; [unrolled: 1-line block ×9, first 2 shown]
	ds_load_b128 v[40:43], v48 offset:8192
	ds_load_b128 v[55:58], v48 offset:10240
	;; [unrolled: 1-line block ×17, first 2 shown]
	s_waitcnt vmcnt(8) lgkmcnt(16)
	v_mul_f64 v[25:26], v[42:43], v[30:31]
	v_mul_f64 v[32:33], v[40:41], v[30:31]
	s_waitcnt lgkmcnt(15)
	v_mul_f64 v[119:120], v[57:58], v[30:31]
	v_mul_f64 v[121:122], v[55:56], v[30:31]
	s_waitcnt vmcnt(7) lgkmcnt(14)
	v_mul_f64 v[123:124], v[61:62], v[38:39]
	v_mul_f64 v[125:126], v[59:60], v[38:39]
	s_waitcnt lgkmcnt(13)
	v_mul_f64 v[127:128], v[65:66], v[38:39]
	v_mul_f64 v[129:130], v[63:64], v[38:39]
	s_waitcnt vmcnt(6) lgkmcnt(12)
	v_mul_f64 v[131:132], v[69:70], v[46:47]
	v_mul_f64 v[133:134], v[67:68], v[46:47]
	s_waitcnt vmcnt(5) lgkmcnt(11)
	v_mul_f64 v[135:136], v[73:74], v[53:54]
	v_mul_f64 v[137:138], v[71:72], v[53:54]
	s_waitcnt lgkmcnt(9)
	v_mul_f64 v[139:140], v[77:78], v[46:47]
	v_mul_f64 v[141:142], v[75:76], v[46:47]
	;; [unrolled: 1-line block ×4, first 2 shown]
	v_fma_f64 v[34:35], v[40:41], v[28:29], v[25:26]
	v_fma_f64 v[38:39], v[42:43], v[28:29], -v[32:33]
	v_fma_f64 v[30:31], v[55:56], v[28:29], v[119:120]
	ds_load_b128 v[53:56], v48 offset:38912
	v_fma_f64 v[32:33], v[57:58], v[28:29], -v[121:122]
	s_waitcnt vmcnt(4) lgkmcnt(9)
	v_mul_f64 v[57:58], v[85:86], v[14:15]
	v_mul_f64 v[119:120], v[83:84], v[14:15]
	v_fma_f64 v[121:122], v[59:60], v[36:37], v[123:124]
	v_fma_f64 v[123:124], v[61:62], v[36:37], -v[125:126]
	s_waitcnt lgkmcnt(8)
	v_mul_f64 v[125:126], v[89:90], v[14:15]
	s_waitcnt vmcnt(3) lgkmcnt(7)
	v_mul_f64 v[59:60], v[93:94], v[10:11]
	v_fma_f64 v[40:41], v[63:64], v[36:37], v[127:128]
	v_fma_f64 v[42:43], v[65:66], v[36:37], -v[129:130]
	v_mul_f64 v[61:62], v[91:92], v[10:11]
	s_waitcnt vmcnt(2) lgkmcnt(5)
	v_mul_f64 v[65:66], v[101:102], v[6:7]
	v_mul_f64 v[127:128], v[99:100], v[6:7]
	s_waitcnt vmcnt(1) lgkmcnt(4)
	v_mul_f64 v[129:130], v[105:106], v[2:3]
	v_fma_f64 v[67:68], v[67:68], v[44:45], v[131:132]
	v_fma_f64 v[69:70], v[69:70], v[44:45], -v[133:134]
	s_waitcnt vmcnt(0) lgkmcnt(2)
	v_mul_f64 v[131:132], v[113:114], v[18:19]
	v_mul_f64 v[133:134], v[103:104], v[2:3]
	v_fma_f64 v[36:37], v[71:72], v[51:52], v[135:136]
	v_fma_f64 v[28:29], v[73:74], v[51:52], -v[137:138]
	v_mul_f64 v[71:72], v[111:112], v[18:19]
	v_mul_f64 v[73:74], v[87:88], v[14:15]
	v_fma_f64 v[46:47], v[75:76], v[44:45], v[139:140]
	v_fma_f64 v[44:45], v[77:78], v[44:45], -v[141:142]
	v_mul_f64 v[75:76], v[97:98], v[10:11]
	v_fma_f64 v[14:15], v[79:80], v[51:52], v[143:144]
	v_fma_f64 v[25:26], v[81:82], v[51:52], -v[145:146]
	v_mul_f64 v[51:52], v[95:96], v[10:11]
	v_mul_f64 v[77:78], v[109:110], v[6:7]
	;; [unrolled: 1-line block ×3, first 2 shown]
	s_waitcnt lgkmcnt(1)
	v_mul_f64 v[81:82], v[117:118], v[2:3]
	v_mul_f64 v[135:136], v[115:116], v[2:3]
	s_waitcnt lgkmcnt(0)
	v_mul_f64 v[137:138], v[55:56], v[18:19]
	v_mul_f64 v[139:140], v[53:54], v[18:19]
	v_lshrrev_b32_e32 v143, 6, v24
	v_fma_f64 v[83:84], v[83:84], v[12:13], v[57:58]
	v_fma_f64 v[85:86], v[85:86], v[12:13], -v[119:120]
	v_add_f64 v[119:120], v[121:122], -v[34:35]
	v_fma_f64 v[87:88], v[87:88], v[12:13], v[125:126]
	v_fma_f64 v[10:11], v[91:92], v[8:9], v[59:60]
	v_fma_f64 v[18:19], v[93:94], v[8:9], -v[61:62]
	v_fma_f64 v[65:66], v[99:100], v[4:5], v[65:66]
	v_fma_f64 v[93:94], v[101:102], v[4:5], -v[127:128]
	v_fma_f64 v[91:92], v[103:104], v[0:1], v[129:130]
	ds_load_b128 v[57:60], v48
	ds_load_b128 v[61:64], v48 offset:2048
	v_add_f64 v[103:104], v[123:124], v[69:70]
	v_fma_f64 v[2:3], v[111:112], v[16:17], v[131:132]
	v_fma_f64 v[99:100], v[105:106], v[0:1], -v[133:134]
	v_add_f64 v[101:102], v[34:35], v[36:37]
	v_add_f64 v[105:106], v[38:39], v[28:29]
	v_fma_f64 v[6:7], v[113:114], v[16:17], -v[71:72]
	v_add_f64 v[71:72], v[121:122], v[67:68]
	v_fma_f64 v[12:13], v[89:90], v[12:13], -v[73:74]
	v_add_f64 v[113:114], v[36:37], -v[67:68]
	v_fma_f64 v[73:74], v[95:96], v[8:9], v[75:76]
	v_add_f64 v[75:76], v[40:41], v[46:47]
	v_add_f64 v[89:90], v[30:31], v[14:15]
	;; [unrolled: 1-line block ×4, first 2 shown]
	v_fma_f64 v[51:52], v[97:98], v[8:9], -v[51:52]
	v_add_f64 v[97:98], v[34:35], -v[121:122]
	v_add_f64 v[125:126], v[67:68], -v[36:37]
	v_fma_f64 v[77:78], v[107:108], v[4:5], v[77:78]
	v_fma_f64 v[79:80], v[109:110], v[4:5], -v[79:80]
	v_fma_f64 v[81:82], v[115:116], v[0:1], v[81:82]
	v_fma_f64 v[0:1], v[117:118], v[0:1], -v[135:136]
	;; [unrolled: 2-line block ×3, first 2 shown]
	s_waitcnt lgkmcnt(1)
	v_add_f64 v[16:17], v[57:58], v[34:35]
	v_add_f64 v[53:54], v[59:60], v[38:39]
	s_waitcnt lgkmcnt(0)
	v_add_f64 v[55:56], v[61:62], v[30:31]
	v_add_f64 v[107:108], v[63:64], v[32:33]
	v_add_f64 v[109:110], v[38:39], -v[123:124]
	v_add_f64 v[115:116], v[28:29], -v[69:70]
	;; [unrolled: 1-line block ×9, first 2 shown]
	s_barrier
	buffer_gl0_inv
	v_add_f64 v[131:132], v[2:3], -v[91:92]
	v_add_f64 v[135:136], v[91:92], -v[2:3]
	;; [unrolled: 1-line block ×3, first 2 shown]
	v_fma_f64 v[71:72], v[71:72], -0.5, v[57:58]
	v_fma_f64 v[57:58], v[101:102], -0.5, v[57:58]
	;; [unrolled: 1-line block ×4, first 2 shown]
	v_add_f64 v[103:104], v[93:94], -v[18:19]
	v_add_f64 v[105:106], v[99:100], -v[6:7]
	v_fma_f64 v[75:76], v[75:76], -0.5, v[61:62]
	v_fma_f64 v[61:62], v[89:90], -0.5, v[61:62]
	;; [unrolled: 1-line block ×4, first 2 shown]
	v_add_f64 v[95:96], v[30:31], -v[40:41]
	v_add_f64 v[111:112], v[14:15], -v[46:47]
	v_add_f64 v[97:98], v[97:98], v[113:114]
	v_add_f64 v[113:114], v[40:41], -v[30:31]
	v_add_f64 v[119:120], v[119:120], v[125:126]
	v_add_f64 v[125:126], v[46:47], -v[14:15]
	v_add_f64 v[30:31], v[30:31], -v[14:15]
	v_add_f64 v[16:17], v[16:17], v[121:122]
	v_add_f64 v[53:54], v[53:54], v[123:124]
	v_add_f64 v[121:122], v[121:122], -v[67:68]
	v_add_f64 v[123:124], v[123:124], -v[69:70]
	v_add_f64 v[55:56], v[55:56], v[40:41]
	v_add_f64 v[109:110], v[109:110], v[115:116]
	v_add_f64 v[115:116], v[32:33], -v[42:43]
	v_add_f64 v[117:118], v[117:118], v[127:128]
	v_add_f64 v[127:128], v[25:26], -v[44:45]
	;; [unrolled: 2-line block ×6, first 2 shown]
	v_add_f64 v[42:43], v[42:43], -v[44:45]
	v_add_f64 v[32:33], v[32:33], -v[25:26]
	v_add_f64 v[103:104], v[103:104], v[105:106]
	v_add_f64 v[105:106], v[4:5], -v[81:82]
	v_add_f64 v[95:96], v[95:96], v[111:112]
	;; [unrolled: 2-line block ×4, first 2 shown]
	v_add_f64 v[67:68], v[93:94], v[99:100]
	v_add_f64 v[53:54], v[53:54], v[69:70]
	;; [unrolled: 1-line block ×5, first 2 shown]
	v_fma_f64 v[141:142], v[123:124], s[0:1], v[57:58]
	v_fma_f64 v[57:58], v[123:124], s[10:11], v[57:58]
	v_add_f64 v[115:116], v[115:116], v[127:128]
	v_add_f64 v[127:128], v[51:52], -v[79:80]
	v_add_f64 v[44:45], v[107:108], v[44:45]
	v_add_f64 v[107:108], v[51:52], v[8:9]
	;; [unrolled: 1-line block ×3, first 2 shown]
	v_add_f64 v[135:136], v[8:9], -v[0:1]
	v_add_f64 v[105:106], v[139:140], v[105:106]
	v_add_f64 v[139:140], v[79:80], -v[51:52]
	v_add_f64 v[111:112], v[111:112], v[125:126]
	v_add_f64 v[125:126], v[0:1], -v[8:9]
	v_fma_f64 v[67:68], v[67:68], -0.5, v[85:86]
	v_add_f64 v[28:29], v[53:54], v[28:29]
	v_fma_f64 v[69:70], v[69:70], -0.5, v[85:86]
	v_add_f64 v[85:86], v[85:86], v[18:19]
	v_fma_f64 v[55:56], v[55:56], -0.5, v[12:13]
	v_add_f64 v[18:19], v[18:19], -v[6:7]
	v_add_f64 v[14:15], v[46:47], v[14:15]
	v_add_f64 v[25:26], v[44:45], v[25:26]
	v_fma_f64 v[107:108], v[107:108], -0.5, v[12:13]
	v_add_f64 v[12:13], v[12:13], v[51:52]
	v_add_f64 v[51:52], v[51:52], -v[8:9]
	v_add_f64 v[127:128], v[127:128], v[135:136]
	v_add_f64 v[135:136], v[65:66], v[91:92]
	;; [unrolled: 1-line block ×5, first 2 shown]
	v_add_f64 v[93:94], v[93:94], -v[99:100]
	v_add_f64 v[12:13], v[12:13], v[79:80]
	v_add_f64 v[79:80], v[79:80], -v[0:1]
	v_fma_f64 v[135:136], v[135:136], -0.5, v[83:84]
	v_fma_f64 v[139:140], v[139:140], -0.5, v[83:84]
	v_add_f64 v[83:84], v[83:84], v[10:11]
	v_add_f64 v[10:11], v[10:11], -v[2:3]
	v_add_f64 v[85:86], v[85:86], v[99:100]
	v_add_f64 v[99:100], v[73:74], v[4:5]
	;; [unrolled: 1-line block ×4, first 2 shown]
	v_fma_f64 v[16:17], v[18:19], s[10:11], v[135:136]
	v_fma_f64 v[36:37], v[18:19], s[0:1], v[135:136]
	;; [unrolled: 1-line block ×3, first 2 shown]
	v_add_f64 v[83:84], v[83:84], v[65:66]
	v_add_f64 v[65:66], v[65:66], -v[91:92]
	v_add_f64 v[85:86], v[85:86], v[6:7]
	v_fma_f64 v[99:100], v[99:100], -0.5, v[87:88]
	v_add_f64 v[46:47], v[12:13], v[8:9]
	v_fma_f64 v[16:17], v[93:94], s[12:13], v[16:17]
	v_fma_f64 v[36:37], v[93:94], s[4:5], v[36:37]
	v_add_f64 v[83:84], v[83:84], v[91:92]
	v_add_f64 v[91:92], v[77:78], v[81:82]
	v_add_f64 v[8:9], v[28:29], -v[85:86]
	v_add_f64 v[12:13], v[25:26], v[46:47]
	v_fma_f64 v[16:17], v[129:130], s[14:15], v[16:17]
	v_fma_f64 v[36:37], v[129:130], s[14:15], v[36:37]
	v_mul_u32_u24_e32 v129, 3, v24
	v_mul_u32_u24_e32 v130, 0x280, v143
	v_add_f64 v[83:84], v[83:84], v[2:3]
	v_fma_f64 v[91:92], v[91:92], -0.5, v[87:88]
	v_add_f64 v[87:88], v[87:88], v[73:74]
	v_add_f64 v[73:74], v[73:74], -v[4:5]
	s_delay_alu instid0(VALU_DEP_4) | instskip(SKIP_1) | instid1(VALU_DEP_4)
	v_add_f64 v[2:3], v[0:1], v[83:84]
	v_add_f64 v[6:7], v[0:1], -v[83:84]
	v_add_f64 v[87:88], v[87:88], v[77:78]
	v_add_f64 v[77:78], v[77:78], -v[81:82]
	v_or_b32_e32 v0, v130, v50
	v_mul_u32_u24_e32 v1, 0x280, v49
	s_delay_alu instid0(VALU_DEP_4) | instskip(SKIP_2) | instid1(VALU_DEP_3)
	v_add_f64 v[81:82], v[87:88], v[81:82]
	v_fma_f64 v[87:88], v[38:39], s[10:11], v[71:72]
	v_fma_f64 v[71:72], v[38:39], s[0:1], v[71:72]
	v_add_f64 v[44:45], v[81:82], v[4:5]
	s_delay_alu instid0(VALU_DEP_3) | instskip(NEXT) | instid1(VALU_DEP_3)
	v_fma_f64 v[87:88], v[123:124], s[12:13], v[87:88]
	v_fma_f64 v[71:72], v[123:124], s[4:5], v[71:72]
	;; [unrolled: 1-line block ×7, first 2 shown]
	v_add_f64 v[4:5], v[28:29], v[85:86]
	v_fma_f64 v[81:82], v[97:98], s[14:15], v[87:88]
	v_fma_f64 v[71:72], v[97:98], s[14:15], v[71:72]
	;; [unrolled: 1-line block ×52, first 2 shown]
	v_mul_f64 v[121:122], v[135:136], s[14:15]
	v_fma_f64 v[123:124], v[30:31], s[4:5], v[127:128]
	v_fma_f64 v[30:31], v[30:31], s[12:13], v[63:64]
	;; [unrolled: 1-line block ×3, first 2 shown]
	v_mul_f64 v[77:78], v[67:68], s[12:13]
	v_mul_f64 v[67:68], v[67:68], s[16:17]
	v_fma_f64 v[79:80], v[105:106], s[14:15], v[79:80]
	v_mul_f64 v[127:128], v[55:56], s[12:13]
	v_mul_f64 v[55:56], v[55:56], s[20:21]
	v_fma_f64 v[105:106], v[111:112], s[14:15], v[107:108]
	v_mul_f64 v[107:108], v[69:70], s[10:11]
	v_fma_f64 v[91:92], v[34:35], s[4:5], v[99:100]
	v_fma_f64 v[34:35], v[34:35], s[12:13], v[59:60]
	;; [unrolled: 1-line block ×6, first 2 shown]
	v_mul_f64 v[61:62], v[93:94], s[12:13]
	v_mul_f64 v[93:94], v[93:94], s[16:17]
	v_mul_f64 v[103:104], v[135:136], s[10:11]
	v_fma_f64 v[99:100], v[40:41], s[4:5], v[125:126]
	v_fma_f64 v[40:41], v[40:41], s[12:13], v[89:90]
	v_mul_f64 v[89:90], v[10:11], s[10:11]
	v_mul_f64 v[10:11], v[10:11], s[18:19]
	;; [unrolled: 1-line block ×5, first 2 shown]
	v_fma_f64 v[51:52], v[111:112], s[14:15], v[51:52]
	v_mul_f64 v[111:112], v[73:74], s[10:11]
	v_mul_f64 v[73:74], v[73:74], s[18:19]
	v_fma_f64 v[38:39], v[109:110], s[14:15], v[53:54]
	v_fma_f64 v[77:78], v[63:64], s[16:17], v[77:78]
	v_fma_f64 v[119:120], v[131:132], s[14:15], v[123:124]
	v_fma_f64 v[107:108], v[105:106], s[14:15], v[107:108]
	v_fma_f64 v[75:76], v[113:114], s[14:15], v[75:76]
	v_fma_f64 v[113:114], v[113:114], s[14:15], v[32:33]
	v_fma_f64 v[53:54], v[16:17], s[16:17], v[61:62]
	v_fma_f64 v[61:62], v[16:17], s[4:5], v[93:94]
	v_fma_f64 v[93:94], v[109:110], s[14:15], v[57:58]
	v_fma_f64 v[57:58], v[117:118], s[14:15], v[91:92]
	v_fma_f64 v[91:92], v[101:102], s[14:15], v[103:104]
	v_fma_f64 v[101:102], v[101:102], s[0:1], v[121:122]
	v_fma_f64 v[103:104], v[117:118], s[14:15], v[34:35]
	v_fma_f64 v[109:110], v[95:96], s[14:15], v[59:60]
	v_fma_f64 v[59:60], v[18:19], s[18:19], v[89:90]
	v_fma_f64 v[18:19], v[18:19], s[0:1], v[10:11]
	v_fma_f64 v[89:90], v[36:37], s[20:21], v[125:126]
	v_fma_f64 v[65:66], v[36:37], s[4:5], v[65:66]
	v_fma_f64 v[99:100], v[115:116], s[14:15], v[99:100]
	v_fma_f64 v[117:118], v[63:64], s[4:5], v[67:68]
	v_fma_f64 v[105:106], v[105:106], s[0:1], v[69:70]
	v_fma_f64 v[121:122], v[131:132], s[14:15], v[30:31]
	v_fma_f64 v[111:112], v[51:52], s[18:19], v[111:112]
	v_fma_f64 v[123:124], v[51:52], s[0:1], v[73:74]
	v_fma_f64 v[95:96], v[95:96], s[14:15], v[42:43]
	v_fma_f64 v[115:116], v[115:116], s[14:15], v[40:41]
	v_fma_f64 v[125:126], v[79:80], s[20:21], v[127:128]
	v_fma_f64 v[127:128], v[79:80], s[4:5], v[55:56]
	v_add_f64 v[10:11], v[14:15], v[44:45]
	v_add_f64 v[14:15], v[14:15], -v[44:45]
	v_add_f64 v[16:17], v[25:26], -v[46:47]
	v_add_f64 v[28:29], v[81:82], v[53:54]
	v_add_f64 v[30:31], v[38:39], v[61:62]
	v_add_f64 v[34:35], v[38:39], -v[61:62]
	v_add_f64 v[32:33], v[81:82], -v[53:54]
	v_add_f64 v[36:37], v[87:88], v[91:92]
	;; [unrolled: 4-line block ×3, first 2 shown]
	v_add_f64 v[46:47], v[103:104], v[18:19]
	v_add_f64 v[55:56], v[71:72], v[89:90]
	;; [unrolled: 1-line block ×3, first 2 shown]
	v_add_f64 v[51:52], v[97:98], -v[59:60]
	v_add_f64 v[53:54], v[103:104], -v[18:19]
	;; [unrolled: 1-line block ×4, first 2 shown]
	v_add_f64 v[63:64], v[109:110], v[77:78]
	v_add_f64 v[65:66], v[99:100], v[117:118]
	;; [unrolled: 1-line block ×8, first 2 shown]
	v_add_f64 v[67:68], v[109:110], -v[77:78]
	v_add_f64 v[69:70], v[99:100], -v[117:118]
	;; [unrolled: 1-line block ×8, first 2 shown]
	v_lshlrev_b32_e32 v95, 4, v129
	v_lshl_add_u32 v18, v0, 4, 0
	v_or_b32_e32 v19, v1, v50
	s_delay_alu instid0(VALU_DEP_3) | instskip(NEXT) | instid1(VALU_DEP_1)
	v_add_co_u32 v49, s0, s8, v95
	v_add_co_ci_u32_e64 v96, null, s9, 0, s0
	s_delay_alu instid0(VALU_DEP_3) | instskip(NEXT) | instid1(VALU_DEP_3)
	v_lshl_add_u32 v19, v19, 4, 0
	v_add_co_u32 v0, s0, 0x2000, v49
	s_delay_alu instid0(VALU_DEP_1)
	v_add_co_ci_u32_e64 v1, s0, 0, v96, s0
	ds_store_b128 v18, v[2:5]
	ds_store_b128 v18, v[28:31] offset:1024
	ds_store_b128 v18, v[36:39] offset:2048
	;; [unrolled: 1-line block ×9, first 2 shown]
	ds_store_b128 v19, v[10:13]
	ds_store_b128 v19, v[63:66] offset:1024
	ds_store_b128 v19, v[71:74] offset:2048
	;; [unrolled: 1-line block ×9, first 2 shown]
	s_waitcnt lgkmcnt(0)
	s_barrier
	buffer_gl0_inv
	global_load_b128 v[0:3], v[0:1], off offset:1984
	v_add_co_u32 v8, s0, 0x27c0, v49
	s_delay_alu instid0(VALU_DEP_1) | instskip(SKIP_1) | instid1(VALU_DEP_1)
	v_add_co_ci_u32_e64 v9, s0, 0, v96, s0
	v_add_co_u32 v12, s0, 0x3000, v49
	v_add_co_ci_u32_e64 v13, s0, 0, v96, s0
	s_clause 0x2
	global_load_b128 v[4:7], v[8:9], off offset:16
	global_load_b128 v[8:11], v[8:9], off offset:32
	;; [unrolled: 1-line block ×3, first 2 shown]
	v_add_co_u32 v25, s0, 0x3fc0, v49
	s_delay_alu instid0(VALU_DEP_1) | instskip(SKIP_1) | instid1(VALU_DEP_1)
	v_add_co_ci_u32_e64 v26, s0, 0, v96, s0
	v_add_co_u32 v32, s0, 0x5000, v49
	v_add_co_ci_u32_e64 v33, s0, 0, v96, s0
	s_clause 0x2
	global_load_b128 v[16:19], v[25:26], off offset:16
	global_load_b128 v[28:31], v[25:26], off offset:32
	;; [unrolled: 1-line block ×3, first 2 shown]
	v_add_co_u32 v25, s0, 0x57c0, v49
	s_delay_alu instid0(VALU_DEP_1) | instskip(SKIP_4) | instid1(VALU_DEP_1)
	v_add_co_ci_u32_e64 v26, s0, 0, v96, s0
	v_add_co_u32 v44, s0, 0x6000, v49
	v_add_nc_u32_e32 v40, 0x6000, v95
	v_add_co_ci_u32_e64 v45, s0, 0, v96, s0
	v_add_co_u32 v53, s0, 0x6fc0, v49
	v_add_co_ci_u32_e64 v54, s0, 0, v96, s0
	global_load_b128 v[36:39], v[25:26], off offset:16
	v_add_co_u32 v57, s0, s8, v40
	s_clause 0x1
	global_load_b128 v[40:43], v[25:26], off offset:32
	global_load_b128 v[44:47], v[44:45], off offset:4032
	v_add_co_ci_u32_e64 v58, null, s9, 0, s0
	v_add_co_u32 v25, s0, 0x2000, v57
	s_clause 0x1
	global_load_b128 v[49:52], v[53:54], off offset:16
	global_load_b128 v[53:56], v[53:54], off offset:32
	v_add_co_ci_u32_e64 v26, s0, 0, v58, s0
	v_add_co_u32 v65, s0, 0x27c0, v57
	s_delay_alu instid0(VALU_DEP_1)
	v_add_co_ci_u32_e64 v66, s0, 0, v58, s0
	s_clause 0x2
	global_load_b128 v[57:60], v[25:26], off offset:1984
	global_load_b128 v[61:64], v[65:66], off offset:16
	;; [unrolled: 1-line block ×3, first 2 shown]
	ds_load_b128 v[69:72], v48 offset:10240
	ds_load_b128 v[73:76], v48 offset:20480
	;; [unrolled: 1-line block ×11, first 2 shown]
	s_waitcnt vmcnt(14) lgkmcnt(10)
	v_mul_f64 v[25:26], v[71:72], v[2:3]
	v_mul_f64 v[2:3], v[69:70], v[2:3]
	s_waitcnt vmcnt(13) lgkmcnt(9)
	v_mul_f64 v[113:114], v[75:76], v[6:7]
	v_mul_f64 v[6:7], v[73:74], v[6:7]
	;; [unrolled: 3-line block ×3, first 2 shown]
	v_mul_f64 v[115:116], v[79:80], v[10:11]
	v_mul_f64 v[10:11], v[77:78], v[10:11]
	s_waitcnt vmcnt(10) lgkmcnt(5)
	v_mul_f64 v[119:120], v[91:92], v[18:19]
	v_mul_f64 v[18:19], v[89:90], v[18:19]
	s_waitcnt vmcnt(9) lgkmcnt(4)
	;; [unrolled: 3-line block ×3, first 2 shown]
	v_mul_f64 v[123:124], v[103:104], v[34:35]
	v_mul_f64 v[34:35], v[101:102], v[34:35]
	v_fma_f64 v[25:26], v[69:70], v[0:1], v[25:26]
	v_fma_f64 v[125:126], v[71:72], v[0:1], -v[2:3]
	ds_load_b128 v[0:3], v48 offset:16384
	ds_load_b128 v[69:72], v48 offset:26624
	s_waitcnt vmcnt(6) lgkmcnt(3)
	v_mul_f64 v[129:130], v[107:108], v[42:43]
	v_fma_f64 v[113:114], v[73:74], v[4:5], v[113:114]
	v_fma_f64 v[127:128], v[75:76], v[4:5], -v[6:7]
	v_fma_f64 v[81:82], v[81:82], v[12:13], v[117:118]
	v_fma_f64 v[83:84], v[83:84], v[12:13], -v[14:15]
	v_mul_f64 v[12:13], v[105:106], v[42:43]
	ds_load_b128 v[4:7], v48 offset:36864
	ds_load_b128 v[73:76], v48 offset:18432
	v_fma_f64 v[77:78], v[77:78], v[8:9], v[115:116]
	v_fma_f64 v[79:80], v[79:80], v[8:9], -v[10:11]
	ds_load_b128 v[8:11], v48 offset:38912
	s_waitcnt lgkmcnt(5)
	v_mul_f64 v[115:116], v[111:112], v[38:39]
	v_mul_f64 v[38:39], v[109:110], v[38:39]
	v_fma_f64 v[89:90], v[89:90], v[16:17], v[119:120]
	s_waitcnt vmcnt(5) lgkmcnt(4)
	v_mul_f64 v[14:15], v[2:3], v[46:47]
	v_mul_f64 v[42:43], v[0:1], v[46:47]
	s_waitcnt vmcnt(4) lgkmcnt(3)
	v_mul_f64 v[46:47], v[71:72], v[51:52]
	v_fma_f64 v[16:17], v[91:92], v[16:17], -v[18:19]
	v_mul_f64 v[18:19], v[69:70], v[51:52]
	v_fma_f64 v[93:94], v[93:94], v[28:29], v[121:122]
	v_fma_f64 v[28:29], v[95:96], v[28:29], -v[30:31]
	v_fma_f64 v[101:102], v[101:102], v[32:33], v[123:124]
	v_fma_f64 v[32:33], v[103:104], v[32:33], -v[34:35]
	s_waitcnt vmcnt(3) lgkmcnt(2)
	v_mul_f64 v[51:52], v[6:7], v[55:56]
	v_mul_f64 v[55:56], v[4:5], v[55:56]
	s_waitcnt vmcnt(2) lgkmcnt(1)
	v_mul_f64 v[91:92], v[75:76], v[59:60]
	v_mul_f64 v[30:31], v[73:74], v[59:60]
	s_waitcnt vmcnt(1)
	v_mul_f64 v[59:60], v[99:100], v[63:64]
	v_mul_f64 v[63:64], v[97:98], v[63:64]
	v_fma_f64 v[103:104], v[0:1], v[44:45], v[14:15]
	v_fma_f64 v[42:43], v[2:3], v[44:45], -v[42:43]
	ds_load_b128 v[0:3], v48
	s_waitcnt vmcnt(0) lgkmcnt(1)
	v_mul_f64 v[95:96], v[10:11], v[67:68]
	v_mul_f64 v[34:35], v[8:9], v[67:68]
	v_fma_f64 v[67:68], v[109:110], v[36:37], v[115:116]
	v_fma_f64 v[36:37], v[111:112], v[36:37], -v[38:39]
	v_fma_f64 v[38:39], v[105:106], v[40:41], v[129:130]
	v_fma_f64 v[40:41], v[107:108], v[40:41], -v[12:13]
	;; [unrolled: 2-line block ×3, first 2 shown]
	v_add_f64 v[28:29], v[83:84], -v[28:29]
	v_fma_f64 v[46:47], v[4:5], v[53:54], v[51:52]
	v_fma_f64 v[49:50], v[6:7], v[53:54], -v[55:56]
	v_fma_f64 v[51:52], v[73:74], v[57:58], v[91:92]
	v_fma_f64 v[30:31], v[75:76], v[57:58], -v[30:31]
	;; [unrolled: 2-line block ×3, first 2 shown]
	v_add_f64 v[63:64], v[25:26], -v[77:78]
	s_waitcnt lgkmcnt(0)
	v_add_f64 v[59:60], v[0:1], -v[113:114]
	v_add_f64 v[61:62], v[2:3], -v[127:128]
	v_fma_f64 v[57:58], v[8:9], v[65:66], v[95:96]
	v_fma_f64 v[34:35], v[10:11], v[65:66], -v[34:35]
	ds_load_b128 v[4:7], v48 offset:2048
	ds_load_b128 v[8:11], v48 offset:4096
	;; [unrolled: 1-line block ×3, first 2 shown]
	v_add_f64 v[65:66], v[125:126], -v[79:80]
	s_waitcnt lgkmcnt(0)
	s_barrier
	buffer_gl0_inv
	v_add_f64 v[79:80], v[85:86], -v[53:54]
	v_fma_f64 v[53:54], v[83:84], 2.0, -v[28:29]
	v_fma_f64 v[25:26], v[25:26], 2.0, -v[63:64]
	;; [unrolled: 1-line block ×3, first 2 shown]
	v_add_f64 v[69:70], v[4:5], -v[89:90]
	v_add_f64 v[71:72], v[6:7], -v[16:17]
	;; [unrolled: 1-line block ×12, first 2 shown]
	v_fma_f64 v[93:94], v[2:3], 2.0, -v[61:62]
	v_add_f64 v[2:3], v[61:62], -v[63:64]
	v_add_f64 v[44:45], v[51:52], -v[57:58]
	;; [unrolled: 1-line block ×3, first 2 shown]
	v_fma_f64 v[46:47], v[125:126], 2.0, -v[65:66]
	v_add_f64 v[0:1], v[59:60], v[65:66]
	v_fma_f64 v[85:86], v[85:86], 2.0, -v[79:80]
	v_fma_f64 v[95:96], v[4:5], 2.0, -v[69:70]
	;; [unrolled: 1-line block ×13, first 2 shown]
	v_add_f64 v[4:5], v[69:70], v[28:29]
	v_add_f64 v[6:7], v[71:72], -v[16:17]
	v_add_f64 v[8:9], v[67:68], v[38:39]
	v_add_f64 v[10:11], v[73:74], -v[36:37]
	;; [unrolled: 2-line block ×3, first 2 shown]
	v_fma_f64 v[51:52], v[51:52], 2.0, -v[44:45]
	v_fma_f64 v[105:106], v[30:31], 2.0, -v[34:35]
	v_add_f64 v[16:17], v[79:80], v[34:35]
	v_add_f64 v[18:19], v[89:90], -v[44:45]
	v_add_f64 v[28:29], v[91:92], -v[25:26]
	v_add_f64 v[30:31], v[93:94], -v[46:47]
	v_add_f64 v[34:35], v[97:98], -v[53:54]
	v_add_f64 v[32:33], v[95:96], -v[49:50]
	v_fma_f64 v[49:50], v[59:60], 2.0, -v[0:1]
	v_add_f64 v[36:37], v[81:82], -v[55:56]
	v_add_f64 v[38:39], v[83:84], -v[57:58]
	;; [unrolled: 1-line block ×4, first 2 shown]
	v_fma_f64 v[53:54], v[69:70], 2.0, -v[4:5]
	v_fma_f64 v[55:56], v[71:72], 2.0, -v[6:7]
	;; [unrolled: 1-line block ×5, first 2 shown]
	v_add_f64 v[44:45], v[85:86], -v[51:52]
	v_add_f64 v[46:47], v[87:88], -v[105:106]
	v_fma_f64 v[51:52], v[61:62], 2.0, -v[2:3]
	v_fma_f64 v[61:62], v[75:76], 2.0, -v[12:13]
	;; [unrolled: 1-line block ×14, first 2 shown]
	ds_store_b128 v48, v[4:7] offset:32768
	ds_store_b128 v48, v[8:11] offset:34816
	;; [unrolled: 1-line block ×14, first 2 shown]
	ds_store_b128 v48, v[69:72]
	ds_store_b128 v48, v[73:76] offset:2048
	ds_store_b128 v48, v[77:80] offset:4096
	;; [unrolled: 1-line block ×5, first 2 shown]
	s_waitcnt lgkmcnt(0)
	s_barrier
	buffer_gl0_inv
	s_and_saveexec_b32 s0, vcc_lo
	s_cbranch_execz .LBB0_21
; %bb.20:
	v_mul_lo_u32 v2, s3, v22
	v_mul_lo_u32 v3, s2, v23
	v_mad_u64_u32 v[0:1], null, s2, v22, 0
	v_lshl_add_u32 v38, v24, 4, 0
	v_dual_mov_b32 v25, v27 :: v_dual_add_nc_u32 v26, 0x80, v24
	v_lshlrev_b64 v[8:9], 4, v[20:21]
	s_delay_alu instid0(VALU_DEP_4) | instskip(NEXT) | instid1(VALU_DEP_3)
	v_add3_u32 v1, v1, v3, v2
	v_lshlrev_b64 v[12:13], 4, v[24:25]
	s_delay_alu instid0(VALU_DEP_2)
	v_lshlrev_b64 v[10:11], 4, v[0:1]
	ds_load_b128 v[0:3], v38
	ds_load_b128 v[4:7], v38 offset:2048
	v_add_co_u32 v14, vcc_lo, s6, v10
	v_add_co_ci_u32_e32 v15, vcc_lo, s7, v11, vcc_lo
	v_lshlrev_b64 v[10:11], 4, v[26:27]
	s_delay_alu instid0(VALU_DEP_3) | instskip(NEXT) | instid1(VALU_DEP_3)
	v_add_co_u32 v39, vcc_lo, v14, v8
	v_add_co_ci_u32_e32 v40, vcc_lo, v15, v9, vcc_lo
	v_add_nc_u32_e32 v26, 0x100, v24
	s_delay_alu instid0(VALU_DEP_3) | instskip(NEXT) | instid1(VALU_DEP_3)
	v_add_co_u32 v8, vcc_lo, v39, v12
	v_add_co_ci_u32_e32 v9, vcc_lo, v40, v13, vcc_lo
	s_delay_alu instid0(VALU_DEP_3) | instskip(SKIP_3) | instid1(VALU_DEP_4)
	v_lshlrev_b64 v[12:13], 4, v[26:27]
	v_add_co_u32 v10, vcc_lo, v39, v10
	v_add_co_ci_u32_e32 v11, vcc_lo, v40, v11, vcc_lo
	v_add_nc_u32_e32 v26, 0x180, v24
	v_add_co_u32 v18, vcc_lo, v39, v12
	s_waitcnt lgkmcnt(1)
	global_store_b128 v[8:9], v[0:3], off
	s_waitcnt lgkmcnt(0)
	global_store_b128 v[10:11], v[4:7], off
	v_add_co_ci_u32_e32 v19, vcc_lo, v40, v13, vcc_lo
	v_lshlrev_b64 v[16:17], 4, v[26:27]
	v_add_nc_u32_e32 v26, 0x200, v24
	ds_load_b128 v[0:3], v38 offset:4096
	ds_load_b128 v[4:7], v38 offset:6144
	;; [unrolled: 1-line block ×4, first 2 shown]
	v_lshlrev_b64 v[20:21], 4, v[26:27]
	v_add_nc_u32_e32 v26, 0x280, v24
	v_add_co_u32 v16, vcc_lo, v39, v16
	v_add_co_ci_u32_e32 v17, vcc_lo, v40, v17, vcc_lo
	s_delay_alu instid0(VALU_DEP_3) | instskip(SKIP_3) | instid1(VALU_DEP_4)
	v_lshlrev_b64 v[22:23], 4, v[26:27]
	v_add_nc_u32_e32 v26, 0x300, v24
	v_add_co_u32 v20, vcc_lo, v39, v20
	v_add_co_ci_u32_e32 v21, vcc_lo, v40, v21, vcc_lo
	v_add_co_u32 v22, vcc_lo, v39, v22
	s_delay_alu instid0(VALU_DEP_4)
	v_lshlrev_b64 v[28:29], 4, v[26:27]
	v_add_nc_u32_e32 v26, 0x380, v24
	v_add_co_ci_u32_e32 v23, vcc_lo, v40, v23, vcc_lo
	s_waitcnt lgkmcnt(3)
	global_store_b128 v[18:19], v[0:3], off
	s_waitcnt lgkmcnt(2)
	global_store_b128 v[16:17], v[4:7], off
	;; [unrolled: 2-line block ×4, first 2 shown]
	ds_load_b128 v[0:3], v38 offset:12288
	ds_load_b128 v[4:7], v38 offset:14336
	v_lshlrev_b64 v[16:17], 4, v[26:27]
	v_add_nc_u32_e32 v26, 0x400, v24
	ds_load_b128 v[8:11], v38 offset:16384
	ds_load_b128 v[12:15], v38 offset:18432
	v_add_co_u32 v18, vcc_lo, v39, v28
	v_add_co_ci_u32_e32 v19, vcc_lo, v40, v29, vcc_lo
	v_lshlrev_b64 v[20:21], 4, v[26:27]
	v_add_nc_u32_e32 v26, 0x480, v24
	v_add_co_u32 v16, vcc_lo, v39, v16
	v_add_co_ci_u32_e32 v17, vcc_lo, v40, v17, vcc_lo
	s_delay_alu instid0(VALU_DEP_3) | instskip(SKIP_3) | instid1(VALU_DEP_4)
	v_lshlrev_b64 v[22:23], 4, v[26:27]
	v_add_nc_u32_e32 v26, 0x500, v24
	v_add_co_u32 v20, vcc_lo, v39, v20
	v_add_co_ci_u32_e32 v21, vcc_lo, v40, v21, vcc_lo
	v_add_co_u32 v22, vcc_lo, v39, v22
	s_delay_alu instid0(VALU_DEP_4)
	v_lshlrev_b64 v[28:29], 4, v[26:27]
	v_add_nc_u32_e32 v26, 0x580, v24
	v_add_co_ci_u32_e32 v23, vcc_lo, v40, v23, vcc_lo
	s_waitcnt lgkmcnt(3)
	global_store_b128 v[18:19], v[0:3], off
	s_waitcnt lgkmcnt(2)
	global_store_b128 v[16:17], v[4:7], off
	;; [unrolled: 2-line block ×4, first 2 shown]
	ds_load_b128 v[0:3], v38 offset:20480
	ds_load_b128 v[4:7], v38 offset:22528
	v_lshlrev_b64 v[16:17], 4, v[26:27]
	v_add_nc_u32_e32 v26, 0x600, v24
	ds_load_b128 v[8:11], v38 offset:24576
	ds_load_b128 v[12:15], v38 offset:26624
	v_add_co_u32 v18, vcc_lo, v39, v28
	v_add_co_ci_u32_e32 v19, vcc_lo, v40, v29, vcc_lo
	v_lshlrev_b64 v[20:21], 4, v[26:27]
	v_add_nc_u32_e32 v26, 0x680, v24
	v_add_co_u32 v16, vcc_lo, v39, v16
	v_add_co_ci_u32_e32 v17, vcc_lo, v40, v17, vcc_lo
	s_delay_alu instid0(VALU_DEP_3) | instskip(SKIP_3) | instid1(VALU_DEP_3)
	v_lshlrev_b64 v[22:23], 4, v[26:27]
	v_add_nc_u32_e32 v26, 0x700, v24
	v_add_co_u32 v20, vcc_lo, v39, v20
	v_add_co_ci_u32_e32 v21, vcc_lo, v40, v21, vcc_lo
	v_lshlrev_b64 v[28:29], 4, v[26:27]
	v_add_nc_u32_e32 v26, 0x780, v24
	v_add_co_u32 v22, vcc_lo, v39, v22
	v_add_co_ci_u32_e32 v23, vcc_lo, v40, v23, vcc_lo
	s_waitcnt lgkmcnt(3)
	global_store_b128 v[18:19], v[0:3], off
	s_waitcnt lgkmcnt(2)
	global_store_b128 v[16:17], v[4:7], off
	s_waitcnt lgkmcnt(1)
	global_store_b128 v[20:21], v[8:11], off
	s_waitcnt lgkmcnt(0)
	global_store_b128 v[22:23], v[12:15], off
	v_lshlrev_b64 v[8:9], 4, v[26:27]
	v_add_nc_u32_e32 v26, 0x800, v24
	v_add_co_u32 v28, vcc_lo, v39, v28
	v_add_co_ci_u32_e32 v29, vcc_lo, v40, v29, vcc_lo
	s_delay_alu instid0(VALU_DEP_3) | instskip(SKIP_3) | instid1(VALU_DEP_4)
	v_lshlrev_b64 v[10:11], 4, v[26:27]
	v_add_co_u32 v30, vcc_lo, v39, v8
	v_add_nc_u32_e32 v26, 0x880, v24
	v_add_co_ci_u32_e32 v31, vcc_lo, v40, v9, vcc_lo
	v_add_co_u32 v34, vcc_lo, v39, v10
	ds_load_b128 v[0:3], v38 offset:28672
	ds_load_b128 v[4:7], v38 offset:30720
	v_add_co_ci_u32_e32 v35, vcc_lo, v40, v11, vcc_lo
	ds_load_b128 v[8:11], v38 offset:32768
	ds_load_b128 v[12:15], v38 offset:34816
	;; [unrolled: 1-line block ×4, first 2 shown]
	v_lshlrev_b64 v[32:33], 4, v[26:27]
	v_add_nc_u32_e32 v26, 0x900, v24
	s_delay_alu instid0(VALU_DEP_1) | instskip(SKIP_1) | instid1(VALU_DEP_4)
	v_lshlrev_b64 v[36:37], 4, v[26:27]
	v_add_nc_u32_e32 v26, 0x980, v24
	v_add_co_u32 v24, vcc_lo, v39, v32
	v_add_co_ci_u32_e32 v25, vcc_lo, v40, v33, vcc_lo
	s_delay_alu instid0(VALU_DEP_3) | instskip(SKIP_2) | instid1(VALU_DEP_3)
	v_lshlrev_b64 v[26:27], 4, v[26:27]
	v_add_co_u32 v32, vcc_lo, v39, v36
	v_add_co_ci_u32_e32 v33, vcc_lo, v40, v37, vcc_lo
	v_add_co_u32 v26, vcc_lo, v39, v26
	s_delay_alu instid0(VALU_DEP_4)
	v_add_co_ci_u32_e32 v27, vcc_lo, v40, v27, vcc_lo
	s_waitcnt lgkmcnt(5)
	global_store_b128 v[28:29], v[0:3], off
	s_waitcnt lgkmcnt(4)
	global_store_b128 v[30:31], v[4:7], off
	;; [unrolled: 2-line block ×6, first 2 shown]
.LBB0_21:
	s_nop 0
	s_sendmsg sendmsg(MSG_DEALLOC_VGPRS)
	s_endpgm
	.section	.rodata,"a",@progbits
	.p2align	6, 0x0
	.amdhsa_kernel fft_rtc_back_len2560_factors_4_4_4_10_4_wgs_128_tpt_128_halfLds_dp_op_CI_CI_unitstride_sbrr_C2R_dirReg
		.amdhsa_group_segment_fixed_size 0
		.amdhsa_private_segment_fixed_size 0
		.amdhsa_kernarg_size 104
		.amdhsa_user_sgpr_count 15
		.amdhsa_user_sgpr_dispatch_ptr 0
		.amdhsa_user_sgpr_queue_ptr 0
		.amdhsa_user_sgpr_kernarg_segment_ptr 1
		.amdhsa_user_sgpr_dispatch_id 0
		.amdhsa_user_sgpr_private_segment_size 0
		.amdhsa_wavefront_size32 1
		.amdhsa_uses_dynamic_stack 0
		.amdhsa_enable_private_segment 0
		.amdhsa_system_sgpr_workgroup_id_x 1
		.amdhsa_system_sgpr_workgroup_id_y 0
		.amdhsa_system_sgpr_workgroup_id_z 0
		.amdhsa_system_sgpr_workgroup_info 0
		.amdhsa_system_vgpr_workitem_id 0
		.amdhsa_next_free_vgpr 147
		.amdhsa_next_free_sgpr 27
		.amdhsa_reserve_vcc 1
		.amdhsa_float_round_mode_32 0
		.amdhsa_float_round_mode_16_64 0
		.amdhsa_float_denorm_mode_32 3
		.amdhsa_float_denorm_mode_16_64 3
		.amdhsa_dx10_clamp 1
		.amdhsa_ieee_mode 1
		.amdhsa_fp16_overflow 0
		.amdhsa_workgroup_processor_mode 1
		.amdhsa_memory_ordered 1
		.amdhsa_forward_progress 0
		.amdhsa_shared_vgpr_count 0
		.amdhsa_exception_fp_ieee_invalid_op 0
		.amdhsa_exception_fp_denorm_src 0
		.amdhsa_exception_fp_ieee_div_zero 0
		.amdhsa_exception_fp_ieee_overflow 0
		.amdhsa_exception_fp_ieee_underflow 0
		.amdhsa_exception_fp_ieee_inexact 0
		.amdhsa_exception_int_div_zero 0
	.end_amdhsa_kernel
	.text
.Lfunc_end0:
	.size	fft_rtc_back_len2560_factors_4_4_4_10_4_wgs_128_tpt_128_halfLds_dp_op_CI_CI_unitstride_sbrr_C2R_dirReg, .Lfunc_end0-fft_rtc_back_len2560_factors_4_4_4_10_4_wgs_128_tpt_128_halfLds_dp_op_CI_CI_unitstride_sbrr_C2R_dirReg
                                        ; -- End function
	.section	.AMDGPU.csdata,"",@progbits
; Kernel info:
; codeLenInByte = 15624
; NumSgprs: 29
; NumVgprs: 147
; ScratchSize: 0
; MemoryBound: 0
; FloatMode: 240
; IeeeMode: 1
; LDSByteSize: 0 bytes/workgroup (compile time only)
; SGPRBlocks: 3
; VGPRBlocks: 18
; NumSGPRsForWavesPerEU: 29
; NumVGPRsForWavesPerEU: 147
; Occupancy: 9
; WaveLimiterHint : 1
; COMPUTE_PGM_RSRC2:SCRATCH_EN: 0
; COMPUTE_PGM_RSRC2:USER_SGPR: 15
; COMPUTE_PGM_RSRC2:TRAP_HANDLER: 0
; COMPUTE_PGM_RSRC2:TGID_X_EN: 1
; COMPUTE_PGM_RSRC2:TGID_Y_EN: 0
; COMPUTE_PGM_RSRC2:TGID_Z_EN: 0
; COMPUTE_PGM_RSRC2:TIDIG_COMP_CNT: 0
	.text
	.p2alignl 7, 3214868480
	.fill 96, 4, 3214868480
	.type	__hip_cuid_7c665bfde7715239,@object ; @__hip_cuid_7c665bfde7715239
	.section	.bss,"aw",@nobits
	.globl	__hip_cuid_7c665bfde7715239
__hip_cuid_7c665bfde7715239:
	.byte	0                               ; 0x0
	.size	__hip_cuid_7c665bfde7715239, 1

	.ident	"AMD clang version 19.0.0git (https://github.com/RadeonOpenCompute/llvm-project roc-6.4.0 25133 c7fe45cf4b819c5991fe208aaa96edf142730f1d)"
	.section	".note.GNU-stack","",@progbits
	.addrsig
	.addrsig_sym __hip_cuid_7c665bfde7715239
	.amdgpu_metadata
---
amdhsa.kernels:
  - .args:
      - .actual_access:  read_only
        .address_space:  global
        .offset:         0
        .size:           8
        .value_kind:     global_buffer
      - .offset:         8
        .size:           8
        .value_kind:     by_value
      - .actual_access:  read_only
        .address_space:  global
        .offset:         16
        .size:           8
        .value_kind:     global_buffer
      - .actual_access:  read_only
        .address_space:  global
        .offset:         24
        .size:           8
        .value_kind:     global_buffer
      - .actual_access:  read_only
        .address_space:  global
        .offset:         32
        .size:           8
        .value_kind:     global_buffer
      - .offset:         40
        .size:           8
        .value_kind:     by_value
      - .actual_access:  read_only
        .address_space:  global
        .offset:         48
        .size:           8
        .value_kind:     global_buffer
      - .actual_access:  read_only
        .address_space:  global
        .offset:         56
        .size:           8
        .value_kind:     global_buffer
      - .offset:         64
        .size:           4
        .value_kind:     by_value
      - .actual_access:  read_only
        .address_space:  global
        .offset:         72
        .size:           8
        .value_kind:     global_buffer
      - .actual_access:  read_only
        .address_space:  global
        .offset:         80
        .size:           8
        .value_kind:     global_buffer
      - .actual_access:  read_only
        .address_space:  global
        .offset:         88
        .size:           8
        .value_kind:     global_buffer
      - .actual_access:  write_only
        .address_space:  global
        .offset:         96
        .size:           8
        .value_kind:     global_buffer
    .group_segment_fixed_size: 0
    .kernarg_segment_align: 8
    .kernarg_segment_size: 104
    .language:       OpenCL C
    .language_version:
      - 2
      - 0
    .max_flat_workgroup_size: 128
    .name:           fft_rtc_back_len2560_factors_4_4_4_10_4_wgs_128_tpt_128_halfLds_dp_op_CI_CI_unitstride_sbrr_C2R_dirReg
    .private_segment_fixed_size: 0
    .sgpr_count:     29
    .sgpr_spill_count: 0
    .symbol:         fft_rtc_back_len2560_factors_4_4_4_10_4_wgs_128_tpt_128_halfLds_dp_op_CI_CI_unitstride_sbrr_C2R_dirReg.kd
    .uniform_work_group_size: 1
    .uses_dynamic_stack: false
    .vgpr_count:     147
    .vgpr_spill_count: 0
    .wavefront_size: 32
    .workgroup_processor_mode: 1
amdhsa.target:   amdgcn-amd-amdhsa--gfx1100
amdhsa.version:
  - 1
  - 2
...

	.end_amdgpu_metadata
